;; amdgpu-corpus repo=ROCm/rocFFT kind=compiled arch=gfx906 opt=O3
	.text
	.amdgcn_target "amdgcn-amd-amdhsa--gfx906"
	.amdhsa_code_object_version 6
	.protected	fft_rtc_back_len1680_factors_2_2_2_2_3_7_5_wgs_112_tpt_112_halfLds_sp_ip_CI_unitstride_sbrr_C2R_dirReg ; -- Begin function fft_rtc_back_len1680_factors_2_2_2_2_3_7_5_wgs_112_tpt_112_halfLds_sp_ip_CI_unitstride_sbrr_C2R_dirReg
	.globl	fft_rtc_back_len1680_factors_2_2_2_2_3_7_5_wgs_112_tpt_112_halfLds_sp_ip_CI_unitstride_sbrr_C2R_dirReg
	.p2align	8
	.type	fft_rtc_back_len1680_factors_2_2_2_2_3_7_5_wgs_112_tpt_112_halfLds_sp_ip_CI_unitstride_sbrr_C2R_dirReg,@function
fft_rtc_back_len1680_factors_2_2_2_2_3_7_5_wgs_112_tpt_112_halfLds_sp_ip_CI_unitstride_sbrr_C2R_dirReg: ; @fft_rtc_back_len1680_factors_2_2_2_2_3_7_5_wgs_112_tpt_112_halfLds_sp_ip_CI_unitstride_sbrr_C2R_dirReg
; %bb.0:
	s_load_dwordx2 s[12:13], s[4:5], 0x50
	s_load_dwordx4 s[8:11], s[4:5], 0x0
	s_load_dwordx2 s[2:3], s[4:5], 0x18
	v_mul_u32_u24_e32 v1, 0x24a, v0
	v_add_u32_sdwa v5, s6, v1 dst_sel:DWORD dst_unused:UNUSED_PAD src0_sel:DWORD src1_sel:WORD_1
	v_mov_b32_e32 v3, 0
	s_waitcnt lgkmcnt(0)
	v_cmp_lt_u64_e64 s[0:1], s[10:11], 2
	v_mov_b32_e32 v1, 0
	v_mov_b32_e32 v6, v3
	s_and_b64 vcc, exec, s[0:1]
	v_mov_b32_e32 v2, 0
	s_cbranch_vccnz .LBB0_8
; %bb.1:
	s_load_dwordx2 s[0:1], s[4:5], 0x10
	s_add_u32 s6, s2, 8
	s_addc_u32 s7, s3, 0
	v_mov_b32_e32 v1, 0
	v_mov_b32_e32 v2, 0
	s_waitcnt lgkmcnt(0)
	s_add_u32 s14, s0, 8
	s_addc_u32 s15, s1, 0
	s_mov_b64 s[16:17], 1
.LBB0_2:                                ; =>This Inner Loop Header: Depth=1
	s_load_dwordx2 s[18:19], s[14:15], 0x0
                                        ; implicit-def: $vgpr7_vgpr8
	s_waitcnt lgkmcnt(0)
	v_or_b32_e32 v4, s19, v6
	v_cmp_ne_u64_e32 vcc, 0, v[3:4]
	s_and_saveexec_b64 s[0:1], vcc
	s_xor_b64 s[20:21], exec, s[0:1]
	s_cbranch_execz .LBB0_4
; %bb.3:                                ;   in Loop: Header=BB0_2 Depth=1
	v_cvt_f32_u32_e32 v4, s18
	v_cvt_f32_u32_e32 v7, s19
	s_sub_u32 s0, 0, s18
	s_subb_u32 s1, 0, s19
	v_mac_f32_e32 v4, 0x4f800000, v7
	v_rcp_f32_e32 v4, v4
	v_mul_f32_e32 v4, 0x5f7ffffc, v4
	v_mul_f32_e32 v7, 0x2f800000, v4
	v_trunc_f32_e32 v7, v7
	v_mac_f32_e32 v4, 0xcf800000, v7
	v_cvt_u32_f32_e32 v7, v7
	v_cvt_u32_f32_e32 v4, v4
	v_mul_lo_u32 v8, s0, v7
	v_mul_hi_u32 v9, s0, v4
	v_mul_lo_u32 v11, s1, v4
	v_mul_lo_u32 v10, s0, v4
	v_add_u32_e32 v8, v9, v8
	v_add_u32_e32 v8, v8, v11
	v_mul_hi_u32 v9, v4, v10
	v_mul_lo_u32 v11, v4, v8
	v_mul_hi_u32 v13, v4, v8
	v_mul_hi_u32 v12, v7, v10
	v_mul_lo_u32 v10, v7, v10
	v_mul_hi_u32 v14, v7, v8
	v_add_co_u32_e32 v9, vcc, v9, v11
	v_addc_co_u32_e32 v11, vcc, 0, v13, vcc
	v_mul_lo_u32 v8, v7, v8
	v_add_co_u32_e32 v9, vcc, v9, v10
	v_addc_co_u32_e32 v9, vcc, v11, v12, vcc
	v_addc_co_u32_e32 v10, vcc, 0, v14, vcc
	v_add_co_u32_e32 v8, vcc, v9, v8
	v_addc_co_u32_e32 v9, vcc, 0, v10, vcc
	v_add_co_u32_e32 v4, vcc, v4, v8
	v_addc_co_u32_e32 v7, vcc, v7, v9, vcc
	v_mul_lo_u32 v8, s0, v7
	v_mul_hi_u32 v9, s0, v4
	v_mul_lo_u32 v10, s1, v4
	v_mul_lo_u32 v11, s0, v4
	v_add_u32_e32 v8, v9, v8
	v_add_u32_e32 v8, v8, v10
	v_mul_lo_u32 v12, v4, v8
	v_mul_hi_u32 v13, v4, v11
	v_mul_hi_u32 v14, v4, v8
	;; [unrolled: 1-line block ×3, first 2 shown]
	v_mul_lo_u32 v11, v7, v11
	v_mul_hi_u32 v9, v7, v8
	v_add_co_u32_e32 v12, vcc, v13, v12
	v_addc_co_u32_e32 v13, vcc, 0, v14, vcc
	v_mul_lo_u32 v8, v7, v8
	v_add_co_u32_e32 v11, vcc, v12, v11
	v_addc_co_u32_e32 v10, vcc, v13, v10, vcc
	v_addc_co_u32_e32 v9, vcc, 0, v9, vcc
	v_add_co_u32_e32 v8, vcc, v10, v8
	v_addc_co_u32_e32 v9, vcc, 0, v9, vcc
	v_add_co_u32_e32 v4, vcc, v4, v8
	v_addc_co_u32_e32 v9, vcc, v7, v9, vcc
	v_mad_u64_u32 v[7:8], s[0:1], v5, v9, 0
	v_mul_hi_u32 v10, v5, v4
	v_add_co_u32_e32 v11, vcc, v10, v7
	v_addc_co_u32_e32 v12, vcc, 0, v8, vcc
	v_mad_u64_u32 v[7:8], s[0:1], v6, v4, 0
	v_mad_u64_u32 v[9:10], s[0:1], v6, v9, 0
	v_add_co_u32_e32 v4, vcc, v11, v7
	v_addc_co_u32_e32 v4, vcc, v12, v8, vcc
	v_addc_co_u32_e32 v7, vcc, 0, v10, vcc
	v_add_co_u32_e32 v4, vcc, v4, v9
	v_addc_co_u32_e32 v9, vcc, 0, v7, vcc
	v_mul_lo_u32 v10, s19, v4
	v_mul_lo_u32 v11, s18, v9
	v_mad_u64_u32 v[7:8], s[0:1], s18, v4, 0
	v_add3_u32 v8, v8, v11, v10
	v_sub_u32_e32 v10, v6, v8
	v_mov_b32_e32 v11, s19
	v_sub_co_u32_e32 v7, vcc, v5, v7
	v_subb_co_u32_e64 v10, s[0:1], v10, v11, vcc
	v_subrev_co_u32_e64 v11, s[0:1], s18, v7
	v_subbrev_co_u32_e64 v10, s[0:1], 0, v10, s[0:1]
	v_cmp_le_u32_e64 s[0:1], s19, v10
	v_cndmask_b32_e64 v12, 0, -1, s[0:1]
	v_cmp_le_u32_e64 s[0:1], s18, v11
	v_cndmask_b32_e64 v11, 0, -1, s[0:1]
	v_cmp_eq_u32_e64 s[0:1], s19, v10
	v_cndmask_b32_e64 v10, v12, v11, s[0:1]
	v_add_co_u32_e64 v11, s[0:1], 2, v4
	v_addc_co_u32_e64 v12, s[0:1], 0, v9, s[0:1]
	v_add_co_u32_e64 v13, s[0:1], 1, v4
	v_addc_co_u32_e64 v14, s[0:1], 0, v9, s[0:1]
	v_subb_co_u32_e32 v8, vcc, v6, v8, vcc
	v_cmp_ne_u32_e64 s[0:1], 0, v10
	v_cmp_le_u32_e32 vcc, s19, v8
	v_cndmask_b32_e64 v10, v14, v12, s[0:1]
	v_cndmask_b32_e64 v12, 0, -1, vcc
	v_cmp_le_u32_e32 vcc, s18, v7
	v_cndmask_b32_e64 v7, 0, -1, vcc
	v_cmp_eq_u32_e32 vcc, s19, v8
	v_cndmask_b32_e32 v7, v12, v7, vcc
	v_cmp_ne_u32_e32 vcc, 0, v7
	v_cndmask_b32_e64 v7, v13, v11, s[0:1]
	v_cndmask_b32_e32 v8, v9, v10, vcc
	v_cndmask_b32_e32 v7, v4, v7, vcc
.LBB0_4:                                ;   in Loop: Header=BB0_2 Depth=1
	s_andn2_saveexec_b64 s[0:1], s[20:21]
	s_cbranch_execz .LBB0_6
; %bb.5:                                ;   in Loop: Header=BB0_2 Depth=1
	v_cvt_f32_u32_e32 v4, s18
	s_sub_i32 s20, 0, s18
	v_rcp_iflag_f32_e32 v4, v4
	v_mul_f32_e32 v4, 0x4f7ffffe, v4
	v_cvt_u32_f32_e32 v4, v4
	v_mul_lo_u32 v7, s20, v4
	v_mul_hi_u32 v7, v4, v7
	v_add_u32_e32 v4, v4, v7
	v_mul_hi_u32 v4, v5, v4
	v_mul_lo_u32 v7, v4, s18
	v_add_u32_e32 v8, 1, v4
	v_sub_u32_e32 v7, v5, v7
	v_subrev_u32_e32 v9, s18, v7
	v_cmp_le_u32_e32 vcc, s18, v7
	v_cndmask_b32_e32 v7, v7, v9, vcc
	v_cndmask_b32_e32 v4, v4, v8, vcc
	v_add_u32_e32 v8, 1, v4
	v_cmp_le_u32_e32 vcc, s18, v7
	v_cndmask_b32_e32 v7, v4, v8, vcc
	v_mov_b32_e32 v8, v3
.LBB0_6:                                ;   in Loop: Header=BB0_2 Depth=1
	s_or_b64 exec, exec, s[0:1]
	v_mul_lo_u32 v4, v8, s18
	v_mul_lo_u32 v11, v7, s19
	v_mad_u64_u32 v[9:10], s[0:1], v7, s18, 0
	s_load_dwordx2 s[0:1], s[6:7], 0x0
	s_add_u32 s16, s16, 1
	v_add3_u32 v4, v10, v11, v4
	v_sub_co_u32_e32 v5, vcc, v5, v9
	v_subb_co_u32_e32 v4, vcc, v6, v4, vcc
	s_waitcnt lgkmcnt(0)
	v_mul_lo_u32 v4, s0, v4
	v_mul_lo_u32 v6, s1, v5
	v_mad_u64_u32 v[1:2], s[0:1], s0, v5, v[1:2]
	s_addc_u32 s17, s17, 0
	s_add_u32 s6, s6, 8
	v_add3_u32 v2, v6, v2, v4
	v_mov_b32_e32 v4, s10
	v_mov_b32_e32 v5, s11
	s_addc_u32 s7, s7, 0
	v_cmp_ge_u64_e32 vcc, s[16:17], v[4:5]
	s_add_u32 s14, s14, 8
	s_addc_u32 s15, s15, 0
	s_cbranch_vccnz .LBB0_9
; %bb.7:                                ;   in Loop: Header=BB0_2 Depth=1
	v_mov_b32_e32 v5, v7
	v_mov_b32_e32 v6, v8
	s_branch .LBB0_2
.LBB0_8:
	v_mov_b32_e32 v8, v6
	v_mov_b32_e32 v7, v5
.LBB0_9:
	s_lshl_b64 s[0:1], s[10:11], 3
	s_add_u32 s0, s2, s0
	s_addc_u32 s1, s3, s1
	s_load_dwordx2 s[2:3], s[0:1], 0x0
	s_load_dwordx2 s[6:7], s[4:5], 0x20
	s_waitcnt lgkmcnt(0)
	v_mad_u64_u32 v[1:2], s[0:1], s2, v7, v[1:2]
	v_mul_lo_u32 v3, s2, v8
	v_mul_lo_u32 v4, s3, v7
	s_mov_b32 s0, 0x2492493
	v_mul_hi_u32 v5, v0, s0
	v_cmp_gt_u64_e64 s[0:1], s[6:7], v[7:8]
	v_add3_u32 v2, v4, v2, v3
	v_lshlrev_b64 v[42:43], 3, v[1:2]
	v_mul_u32_u24_e32 v3, 0x70, v5
	v_sub_u32_e32 v40, v0, v3
	s_and_saveexec_b64 s[2:3], s[0:1]
	s_cbranch_execz .LBB0_13
; %bb.10:
	v_mov_b32_e32 v41, 0
	v_mov_b32_e32 v0, s13
	v_add_co_u32_e32 v1, vcc, s12, v42
	v_lshlrev_b64 v[2:3], 3, v[40:41]
	v_addc_co_u32_e32 v0, vcc, v0, v43, vcc
	v_add_co_u32_e32 v2, vcc, v1, v2
	v_addc_co_u32_e32 v3, vcc, v0, v3, vcc
	s_movk_i32 s4, 0x1000
	v_or_b32_e32 v22, 0x380, v40
	v_mov_b32_e32 v23, v41
	v_add_co_u32_e32 v6, vcc, s4, v2
	v_lshlrev_b64 v[22:23], 3, v[22:23]
	v_addc_co_u32_e32 v7, vcc, 0, v3, vcc
	v_add_co_u32_e32 v22, vcc, v1, v22
	s_movk_i32 s4, 0x2000
	v_addc_co_u32_e32 v23, vcc, v0, v23, vcc
	v_add_co_u32_e32 v24, vcc, s4, v2
	v_addc_co_u32_e32 v25, vcc, 0, v3, vcc
	global_load_dwordx2 v[4:5], v[2:3], off offset:2688
	global_load_dwordx2 v[8:9], v[2:3], off offset:3584
	;; [unrolled: 1-line block ×5, first 2 shown]
	global_load_dwordx2 v[16:17], v[2:3], off
	global_load_dwordx2 v[18:19], v[2:3], off offset:1792
	global_load_dwordx2 v[20:21], v[2:3], off offset:896
	v_add_co_u32_e32 v2, vcc, 0x3000, v2
	v_addc_co_u32_e32 v3, vcc, 0, v3, vcc
	global_load_dwordx2 v[26:27], v[24:25], off offset:1664
	global_load_dwordx2 v[28:29], v[24:25], off offset:768
	global_load_dwordx2 v[30:31], v[22:23], off
	global_load_dwordx2 v[32:33], v[6:7], off offset:3968
	global_load_dwordx2 v[34:35], v[24:25], off offset:2560
	global_load_dwordx2 v[36:37], v[24:25], off offset:3456
	global_load_dwordx2 v[38:39], v[2:3], off offset:256
	v_lshl_add_u32 v2, v40, 3, 0
	s_movk_i32 s4, 0x6f
	v_add_u32_e32 v3, 0x400, v2
	v_cmp_eq_u32_e32 vcc, s4, v40
	v_add_u32_e32 v6, 0xc00, v2
	v_add_u32_e32 v7, 0x1400, v2
	;; [unrolled: 1-line block ×5, first 2 shown]
	s_waitcnt vmcnt(8)
	ds_write2_b64 v3, v[18:19], v[4:5] offset0:96 offset1:208
	s_waitcnt vmcnt(7)
	ds_write2_b64 v2, v[16:17], v[20:21] offset1:112
	ds_write2_b64 v6, v[8:9], v[10:11] offset0:64 offset1:176
	ds_write2_b64 v7, v[12:13], v[14:15] offset0:32 offset1:144
	s_waitcnt vmcnt(3)
	ds_write2_b64 v22, v[30:31], v[32:33] offset0:128 offset1:240
	ds_write2_b64 v23, v[28:29], v[26:27] offset0:96 offset1:208
	s_waitcnt vmcnt(1)
	ds_write2_b64 v24, v[34:35], v[36:37] offset0:64 offset1:176
	s_waitcnt vmcnt(0)
	ds_write_b64 v2, v[38:39] offset:12544
	s_and_saveexec_b64 s[4:5], vcc
	s_cbranch_execz .LBB0_12
; %bb.11:
	v_add_co_u32_e32 v1, vcc, 0x3000, v1
	v_addc_co_u32_e32 v2, vcc, 0, v0, vcc
	global_load_dwordx2 v[0:1], v[1:2], off offset:1152
	v_mov_b32_e32 v40, 0x6f
	s_waitcnt vmcnt(0)
	ds_write_b64 v41, v[0:1] offset:13440
.LBB0_12:
	s_or_b64 exec, exec, s[4:5]
.LBB0_13:
	s_or_b64 exec, exec, s[2:3]
	v_lshlrev_b32_e32 v0, 3, v40
	v_add_u32_e32 v48, 0, v0
	s_waitcnt lgkmcnt(0)
	s_barrier
	v_sub_u32_e32 v4, 0, v0
	ds_read_b32 v5, v48
	ds_read_b32 v6, v4 offset:13440
	s_add_u32 s4, s8, 0x3470
	s_addc_u32 s5, s9, 0
	v_cmp_ne_u32_e32 vcc, 0, v40
                                        ; implicit-def: $vgpr0_vgpr1
	s_waitcnt lgkmcnt(0)
	v_add_f32_e32 v2, v6, v5
	v_sub_f32_e32 v3, v5, v6
	s_and_saveexec_b64 s[2:3], vcc
	s_xor_b64 s[2:3], exec, s[2:3]
	s_cbranch_execz .LBB0_15
; %bb.14:
	v_mov_b32_e32 v41, 0
	v_lshlrev_b64 v[0:1], 3, v[40:41]
	v_mov_b32_e32 v2, s5
	v_add_co_u32_e32 v0, vcc, s4, v0
	v_addc_co_u32_e32 v1, vcc, v2, v1, vcc
	global_load_dwordx2 v[0:1], v[0:1], off
	ds_read_b32 v2, v4 offset:13444
	ds_read_b32 v3, v48 offset:4
	v_add_f32_e32 v7, v6, v5
	v_sub_f32_e32 v8, v5, v6
	s_waitcnt lgkmcnt(0)
	v_add_f32_e32 v9, v2, v3
	v_sub_f32_e32 v2, v3, v2
	s_waitcnt vmcnt(0)
	v_fma_f32 v10, v8, v1, v7
	v_fma_f32 v3, v9, v1, v2
	v_fma_f32 v5, -v8, v1, v7
	v_fma_f32 v6, v9, v1, -v2
	v_fma_f32 v2, -v0, v9, v10
	v_fmac_f32_e32 v3, v8, v0
	v_fmac_f32_e32 v5, v0, v9
	;; [unrolled: 1-line block ×3, first 2 shown]
	v_mov_b32_e32 v0, v40
	ds_write_b64 v4, v[5:6] offset:13440
	v_mov_b32_e32 v1, v41
.LBB0_15:
	s_andn2_saveexec_b64 s[2:3], s[2:3]
	s_cbranch_execz .LBB0_17
; %bb.16:
	v_mov_b32_e32 v7, 0
	ds_read_b64 v[0:1], v7 offset:6720
	s_waitcnt lgkmcnt(0)
	v_add_f32_e32 v5, v0, v0
	v_mul_f32_e32 v6, -2.0, v1
	v_mov_b32_e32 v0, 0
	v_mov_b32_e32 v1, 0
	ds_write_b64 v7, v[5:6] offset:6720
.LBB0_17:
	s_or_b64 exec, exec, s[2:3]
	v_lshlrev_b64 v[0:1], 3, v[0:1]
	v_mov_b32_e32 v5, s5
	v_add_co_u32_e32 v0, vcc, s4, v0
	v_addc_co_u32_e32 v1, vcc, v5, v1, vcc
	global_load_dwordx2 v[5:6], v[0:1], off offset:896
	global_load_dwordx2 v[7:8], v[0:1], off offset:1792
	global_load_dwordx2 v[9:10], v[0:1], off offset:2688
	global_load_dwordx2 v[11:12], v[0:1], off offset:3584
	s_movk_i32 s2, 0x1000
	v_add_co_u32_e32 v15, vcc, s2, v0
	ds_write_b64 v48, v[2:3]
	v_addc_co_u32_e32 v16, vcc, 0, v1, vcc
	ds_read_b64 v[2:3], v48 offset:896
	ds_read_b64 v[13:14], v4 offset:12544
	global_load_dwordx2 v[17:18], v[15:16], off offset:384
	v_cmp_gt_u32_e64 s[2:3], 56, v40
	s_waitcnt lgkmcnt(0)
	v_add_f32_e32 v19, v2, v13
	v_add_f32_e32 v20, v14, v3
	v_sub_f32_e32 v21, v2, v13
	v_sub_f32_e32 v2, v3, v14
	s_waitcnt vmcnt(4)
	v_fma_f32 v22, v21, v6, v19
	v_fma_f32 v3, v20, v6, v2
	v_fma_f32 v13, -v21, v6, v19
	v_fma_f32 v14, v20, v6, -v2
	v_fma_f32 v2, -v5, v20, v22
	v_fmac_f32_e32 v3, v21, v5
	v_fmac_f32_e32 v13, v5, v20
	;; [unrolled: 1-line block ×3, first 2 shown]
	ds_write_b64 v48, v[2:3] offset:896
	ds_write_b64 v4, v[13:14] offset:12544
	ds_read_b64 v[2:3], v48 offset:1792
	ds_read_b64 v[5:6], v4 offset:11648
	global_load_dwordx2 v[13:14], v[15:16], off offset:1280
	s_waitcnt lgkmcnt(0)
	v_add_f32_e32 v15, v2, v5
	v_add_f32_e32 v16, v6, v3
	v_sub_f32_e32 v19, v2, v5
	v_sub_f32_e32 v2, v3, v6
	s_waitcnt vmcnt(4)
	v_fma_f32 v20, v19, v8, v15
	v_fma_f32 v3, v16, v8, v2
	v_fma_f32 v5, -v19, v8, v15
	v_fma_f32 v6, v16, v8, -v2
	v_fma_f32 v2, -v7, v16, v20
	v_fmac_f32_e32 v3, v19, v7
	v_fmac_f32_e32 v5, v7, v16
	v_fmac_f32_e32 v6, v19, v7
	ds_write_b64 v48, v[2:3] offset:1792
	ds_write_b64 v4, v[5:6] offset:11648
	ds_read_b64 v[2:3], v48 offset:2688
	ds_read_b64 v[5:6], v4 offset:10752
	s_waitcnt lgkmcnt(0)
	v_add_f32_e32 v7, v2, v5
	v_add_f32_e32 v8, v6, v3
	v_sub_f32_e32 v15, v2, v5
	v_sub_f32_e32 v2, v3, v6
	s_waitcnt vmcnt(3)
	v_fma_f32 v16, v15, v10, v7
	v_fma_f32 v3, v8, v10, v2
	v_fma_f32 v5, -v15, v10, v7
	v_fma_f32 v6, v8, v10, -v2
	v_fma_f32 v2, -v9, v8, v16
	v_fmac_f32_e32 v3, v15, v9
	v_fmac_f32_e32 v5, v9, v8
	v_fmac_f32_e32 v6, v15, v9
	ds_write_b64 v48, v[2:3] offset:2688
	ds_write_b64 v4, v[5:6] offset:10752
	ds_read_b64 v[2:3], v48 offset:3584
	ds_read_b64 v[5:6], v4 offset:9856
	;; [unrolled: 18-line block ×4, first 2 shown]
	s_waitcnt lgkmcnt(0)
	v_add_f32_e32 v7, v2, v5
	v_add_f32_e32 v8, v6, v3
	v_sub_f32_e32 v9, v2, v5
	v_sub_f32_e32 v2, v3, v6
	s_waitcnt vmcnt(0)
	v_fma_f32 v10, v9, v14, v7
	v_fma_f32 v3, v8, v14, v2
	v_fma_f32 v5, -v9, v14, v7
	v_fma_f32 v6, v8, v14, -v2
	v_fma_f32 v2, -v13, v8, v10
	v_fmac_f32_e32 v3, v9, v13
	v_fmac_f32_e32 v5, v13, v8
	;; [unrolled: 1-line block ×3, first 2 shown]
	ds_write_b64 v48, v[2:3] offset:5376
	ds_write_b64 v4, v[5:6] offset:8064
	s_and_saveexec_b64 s[4:5], s[2:3]
	s_cbranch_execz .LBB0_19
; %bb.18:
	v_add_co_u32_e32 v0, vcc, 0x1000, v0
	v_addc_co_u32_e32 v1, vcc, 0, v1, vcc
	global_load_dwordx2 v[0:1], v[0:1], off offset:2176
	ds_read_b64 v[2:3], v48 offset:6272
	ds_read_b64 v[5:6], v4 offset:7168
	s_waitcnt lgkmcnt(0)
	v_add_f32_e32 v7, v2, v5
	v_add_f32_e32 v8, v6, v3
	v_sub_f32_e32 v9, v2, v5
	v_sub_f32_e32 v3, v3, v6
	s_waitcnt vmcnt(0)
	v_fma_f32 v10, v9, v1, v7
	v_fma_f32 v2, v8, v1, v3
	v_fma_f32 v5, -v9, v1, v7
	v_fma_f32 v6, v8, v1, -v3
	v_fma_f32 v1, -v0, v8, v10
	v_fmac_f32_e32 v2, v9, v0
	v_fmac_f32_e32 v5, v0, v8
	;; [unrolled: 1-line block ×3, first 2 shown]
	ds_write_b64 v48, v[1:2] offset:6272
	ds_write_b64 v4, v[5:6] offset:7168
.LBB0_19:
	s_or_b64 exec, exec, s[4:5]
	v_add_u32_e32 v0, 0x1800, v48
	s_waitcnt lgkmcnt(0)
	s_barrier
	s_barrier
	ds_read2_b64 v[1:4], v48 offset1:112
	ds_read2_b64 v[13:16], v0 offset0:72 offset1:184
	v_add_u32_e32 v8, 0x400, v48
	v_add_u32_e32 v0, 0x2000, v48
	ds_read2_b64 v[17:20], v8 offset0:96 offset1:208
	ds_read2_b64 v[25:28], v0 offset0:40 offset1:152
	v_add_u32_e32 v7, 0x2c00, v48
	s_waitcnt lgkmcnt(2)
	v_sub_f32_e32 v5, v1, v13
	v_sub_f32_e32 v6, v2, v14
	v_add_u32_e32 v12, 0xc00, v48
	v_add_u32_e32 v24, 0x2800, v48
	;; [unrolled: 1-line block ×3, first 2 shown]
	v_fma_f32 v1, v1, 2.0, -v5
	v_fma_f32 v2, v2, 2.0, -v6
	ds_read2_b64 v[35:38], v7 offset0:104 offset1:216
	ds_read2_b64 v[44:47], v12 offset0:64 offset1:176
	;; [unrolled: 1-line block ×4, first 2 shown]
	v_lshl_add_u32 v7, v40, 3, v48
	s_waitcnt lgkmcnt(0)
	s_barrier
	ds_write2_b64 v7, v[1:2], v[5:6] offset1:1
	v_sub_f32_e32 v1, v3, v15
	v_sub_f32_e32 v2, v4, v16
	v_add_u32_e32 v49, 0x70, v40
	v_fma_f32 v3, v3, 2.0, -v1
	v_fma_f32 v4, v4, 2.0, -v2
	v_lshl_add_u32 v5, v49, 4, 0
	ds_write2_b64 v5, v[3:4], v[1:2] offset1:1
	v_sub_f32_e32 v1, v17, v25
	v_sub_f32_e32 v2, v18, v26
	v_add_u32_e32 v41, 0xe0, v40
	v_fma_f32 v3, v17, 2.0, -v1
	v_fma_f32 v4, v18, 2.0, -v2
	v_lshl_add_u32 v5, v41, 4, 0
	;; [unrolled: 7-line block ×4, first 2 shown]
	ds_write2_b64 v5, v[3:4], v[1:2] offset1:1
	v_sub_f32_e32 v1, v46, v52
	v_sub_f32_e32 v2, v47, v53
	v_add_u32_e32 v34, 0x230, v40
	v_fma_f32 v3, v46, 2.0, -v1
	v_fma_f32 v4, v47, 2.0, -v2
	v_sub_f32_e32 v5, v54, v35
	v_sub_f32_e32 v6, v55, v36
	;; [unrolled: 1-line block ×4, first 2 shown]
	v_add_u32_e32 v45, 0x2a0, v40
	v_lshl_add_u32 v7, v34, 4, 0
	v_fma_f32 v9, v54, 2.0, -v5
	v_fma_f32 v10, v55, 2.0, -v6
	;; [unrolled: 1-line block ×4, first 2 shown]
	v_add_u32_e32 v44, 0x310, v40
	ds_write2_b64 v7, v[3:4], v[1:2] offset1:1
	v_lshl_add_u32 v1, v45, 4, 0
	ds_write2_b64 v1, v[9:10], v[5:6] offset1:1
	s_and_saveexec_b64 s[4:5], s[2:3]
	s_cbranch_execz .LBB0_21
; %bb.20:
	v_lshl_add_u32 v1, v44, 4, 0
	ds_write2_b64 v1, v[28:29], v[30:31] offset1:1
.LBB0_21:
	s_or_b64 exec, exec, s[4:5]
	v_add_u32_e32 v9, 0x1c00, v48
	v_add_u32_e32 v13, 0x2400, v48
	s_waitcnt lgkmcnt(0)
	s_barrier
	ds_read2_b64 v[4:7], v48 offset1:112
	ds_read2_b64 v[0:3], v0 offset0:32 offset1:200
	ds_read2_b64 v[16:19], v9 offset0:56 offset1:168
	;; [unrolled: 1-line block ×6, first 2 shown]
	v_lshlrev_b32_e32 v38, 1, v49
	v_lshlrev_b32_e32 v36, 1, v41
	;; [unrolled: 1-line block ×6, first 2 shown]
	s_and_saveexec_b64 s[4:5], s[2:3]
	s_cbranch_execz .LBB0_23
; %bb.22:
	ds_read_b64 v[28:29], v48 offset:6272
	ds_read_b64 v[30:31], v48 offset:12992
.LBB0_23:
	s_or_b64 exec, exec, s[4:5]
	v_and_b32_e32 v45, 1, v40
	v_lshlrev_b32_e32 v46, 3, v45
	global_load_dwordx2 v[50:51], v46, s[8:9]
	s_movk_i32 s4, 0xfc
	v_lshlrev_b32_e32 v46, 1, v40
	s_movk_i32 s5, 0x1fc
	s_movk_i32 s6, 0x3fc
	v_and_or_b32 v47, v46, s4, v45
	s_movk_i32 s7, 0x7fc
	v_and_or_b32 v52, v38, s5, v45
	v_and_or_b32 v53, v36, s6, v45
	;; [unrolled: 1-line block ×3, first 2 shown]
	v_lshl_add_u32 v47, v47, 3, 0
	s_waitcnt vmcnt(0) lgkmcnt(0)
	s_barrier
	v_lshl_add_u32 v52, v52, 3, 0
	v_lshl_add_u32 v53, v53, 3, 0
	;; [unrolled: 1-line block ×3, first 2 shown]
	s_movk_i32 s4, 0x5fc
	v_mul_f32_e32 v55, v51, v3
	v_mul_f32_e32 v56, v51, v2
	;; [unrolled: 1-line block ×8, first 2 shown]
	v_fmac_f32_e32 v55, v50, v2
	v_fma_f32 v3, v50, v3, -v56
	v_mul_f32_e32 v63, v51, v23
	v_mul_f32_e32 v64, v51, v22
	v_fmac_f32_e32 v57, v50, v16
	v_fma_f32 v17, v50, v17, -v58
	v_fmac_f32_e32 v59, v50, v18
	v_fma_f32 v19, v50, v19, -v60
	;; [unrolled: 2-line block ×3, first 2 shown]
	v_sub_f32_e32 v2, v4, v55
	v_sub_f32_e32 v3, v5, v3
	v_fmac_f32_e32 v63, v50, v22
	v_fma_f32 v23, v50, v23, -v64
	v_sub_f32_e32 v16, v6, v57
	v_sub_f32_e32 v17, v7, v17
	v_sub_f32_e32 v18, v8, v59
	v_sub_f32_e32 v19, v9, v19
	v_sub_f32_e32 v20, v10, v61
	v_sub_f32_e32 v21, v11, v21
	v_fma_f32 v4, v4, 2.0, -v2
	v_fma_f32 v5, v5, 2.0, -v3
	v_mul_f32_e32 v65, v51, v25
	v_mul_f32_e32 v66, v51, v24
	v_sub_f32_e32 v22, v12, v63
	v_sub_f32_e32 v23, v13, v23
	v_fma_f32 v6, v6, 2.0, -v16
	v_fma_f32 v7, v7, 2.0, -v17
	;; [unrolled: 1-line block ×6, first 2 shown]
	ds_write2_b64 v47, v[4:5], v[2:3] offset1:2
	ds_write2_b64 v52, v[6:7], v[16:17] offset1:2
	ds_write2_b64 v53, v[8:9], v[18:19] offset1:2
	ds_write2_b64 v54, v[10:11], v[20:21] offset1:2
	v_and_or_b32 v2, v37, s7, v45
	v_fmac_f32_e32 v65, v50, v24
	v_fma_f32 v25, v50, v25, -v66
	v_fma_f32 v12, v12, 2.0, -v22
	v_fma_f32 v13, v13, 2.0, -v23
	v_lshl_add_u32 v2, v2, 3, 0
	v_mul_f32_e32 v67, v51, v27
	v_mul_f32_e32 v68, v51, v26
	;; [unrolled: 1-line block ×4, first 2 shown]
	v_sub_f32_e32 v24, v14, v65
	v_sub_f32_e32 v25, v15, v25
	ds_write2_b64 v2, v[12:13], v[22:23] offset1:2
	v_and_or_b32 v2, v35, s4, v45
	v_fmac_f32_e32 v67, v50, v26
	v_fma_f32 v27, v50, v27, -v68
	v_fmac_f32_e32 v69, v30, v50
	v_fma_f32 v31, v31, v50, -v51
	v_fma_f32 v14, v14, 2.0, -v24
	v_fma_f32 v15, v15, 2.0, -v25
	v_lshl_add_u32 v2, v2, 3, 0
	v_sub_f32_e32 v26, v0, v67
	v_sub_f32_e32 v27, v1, v27
	;; [unrolled: 1-line block ×4, first 2 shown]
	ds_write2_b64 v2, v[14:15], v[24:25] offset1:2
	v_and_or_b32 v2, v34, s7, v45
	v_fma_f32 v0, v0, 2.0, -v26
	v_fma_f32 v1, v1, 2.0, -v27
	;; [unrolled: 1-line block ×4, first 2 shown]
	v_lshl_add_u32 v2, v2, 3, 0
	v_lshlrev_b32_e32 v47, 1, v44
	ds_write2_b64 v2, v[0:1], v[26:27] offset1:2
	s_and_saveexec_b64 s[4:5], s[2:3]
	s_cbranch_execz .LBB0_25
; %bb.24:
	s_movk_i32 s6, 0x6fc
	v_and_or_b32 v0, v47, s6, v45
	v_lshl_add_u32 v0, v0, 3, 0
	ds_write2_b64 v0, v[28:29], v[30:31] offset1:2
.LBB0_25:
	s_or_b64 exec, exec, s[4:5]
	v_add_u32_e32 v8, 0x1c00, v48
	v_add_u32_e32 v12, 0x2400, v48
	s_waitcnt lgkmcnt(0)
	s_barrier
	v_add_u32_e32 v0, 0x1400, v48
	ds_read2_b64 v[16:19], v8 offset0:56 offset1:168
	v_add_u32_e32 v8, 0x400, v48
	ds_read2_b64 v[20:23], v12 offset0:24 offset1:136
	v_add_u32_e32 v12, 0xc00, v48
	v_add_u32_e32 v24, 0x2800, v48
	ds_read2_b64 v[4:7], v48 offset1:112
	ds_read2_b64 v[0:3], v0 offset0:32 offset1:200
	ds_read2_b64 v[8:11], v8 offset0:96 offset1:208
	;; [unrolled: 1-line block ×4, first 2 shown]
	s_and_saveexec_b64 s[4:5], s[2:3]
	s_cbranch_execz .LBB0_27
; %bb.26:
	ds_read_b64 v[28:29], v48 offset:6272
	ds_read_b64 v[30:31], v48 offset:12992
.LBB0_27:
	s_or_b64 exec, exec, s[4:5]
	v_and_b32_e32 v44, 3, v40
	v_lshlrev_b32_e32 v45, 3, v44
	global_load_dwordx2 v[50:51], v45, s[8:9] offset:16
	s_movk_i32 s4, 0xf8
	s_movk_i32 s5, 0x1f8
	;; [unrolled: 1-line block ×4, first 2 shown]
	v_and_or_b32 v45, v46, s4, v44
	v_and_or_b32 v52, v38, s5, v44
	;; [unrolled: 1-line block ×5, first 2 shown]
	v_lshl_add_u32 v45, v45, 3, 0
	s_waitcnt vmcnt(0) lgkmcnt(0)
	s_barrier
	v_lshl_add_u32 v52, v52, 3, 0
	v_lshl_add_u32 v53, v53, 3, 0
	;; [unrolled: 1-line block ×3, first 2 shown]
	s_movk_i32 s4, 0x5f8
	v_mul_f32_e32 v56, v51, v3
	v_mul_f32_e32 v57, v51, v2
	;; [unrolled: 1-line block ×10, first 2 shown]
	v_fmac_f32_e32 v56, v50, v2
	v_fma_f32 v3, v50, v3, -v57
	v_fmac_f32_e32 v58, v50, v16
	v_fma_f32 v17, v50, v17, -v59
	;; [unrolled: 2-line block ×5, first 2 shown]
	v_sub_f32_e32 v2, v4, v56
	v_sub_f32_e32 v3, v5, v3
	v_mul_f32_e32 v66, v51, v25
	v_mul_f32_e32 v67, v51, v24
	v_sub_f32_e32 v16, v6, v58
	v_sub_f32_e32 v17, v7, v17
	;; [unrolled: 1-line block ×8, first 2 shown]
	v_fma_f32 v4, v4, 2.0, -v2
	v_fma_f32 v5, v5, 2.0, -v3
	v_fmac_f32_e32 v66, v50, v24
	v_fma_f32 v25, v50, v25, -v67
	v_fma_f32 v6, v6, 2.0, -v16
	v_fma_f32 v7, v7, 2.0, -v17
	;; [unrolled: 1-line block ×8, first 2 shown]
	ds_write2_b64 v45, v[4:5], v[2:3] offset1:4
	ds_write2_b64 v52, v[6:7], v[16:17] offset1:4
	;; [unrolled: 1-line block ×4, first 2 shown]
	v_lshl_add_u32 v2, v55, 3, 0
	v_mul_f32_e32 v68, v51, v27
	v_mul_f32_e32 v69, v51, v26
	;; [unrolled: 1-line block ×4, first 2 shown]
	v_sub_f32_e32 v24, v14, v66
	v_sub_f32_e32 v25, v15, v25
	ds_write2_b64 v2, v[12:13], v[22:23] offset1:4
	v_and_or_b32 v2, v35, s4, v44
	v_fmac_f32_e32 v68, v50, v26
	v_fma_f32 v27, v50, v27, -v69
	v_fmac_f32_e32 v70, v30, v50
	v_fma_f32 v31, v31, v50, -v51
	v_fma_f32 v14, v14, 2.0, -v24
	v_fma_f32 v15, v15, 2.0, -v25
	v_lshl_add_u32 v2, v2, 3, 0
	v_sub_f32_e32 v26, v0, v68
	v_sub_f32_e32 v27, v1, v27
	;; [unrolled: 1-line block ×4, first 2 shown]
	ds_write2_b64 v2, v[14:15], v[24:25] offset1:4
	v_and_or_b32 v2, v34, s7, v44
	v_fma_f32 v0, v0, 2.0, -v26
	v_fma_f32 v1, v1, 2.0, -v27
	;; [unrolled: 1-line block ×4, first 2 shown]
	v_lshl_add_u32 v2, v2, 3, 0
	ds_write2_b64 v2, v[0:1], v[26:27] offset1:4
	s_and_saveexec_b64 s[4:5], s[2:3]
	s_cbranch_execz .LBB0_29
; %bb.28:
	s_movk_i32 s6, 0x6f8
	v_and_or_b32 v0, v47, s6, v44
	v_lshl_add_u32 v0, v0, 3, 0
	ds_write2_b64 v0, v[28:29], v[30:31] offset1:4
.LBB0_29:
	s_or_b64 exec, exec, s[4:5]
	v_add_u32_e32 v8, 0x1c00, v48
	v_add_u32_e32 v12, 0x2400, v48
	s_waitcnt lgkmcnt(0)
	s_barrier
	v_add_u32_e32 v0, 0x1400, v48
	ds_read2_b64 v[16:19], v8 offset0:56 offset1:168
	v_add_u32_e32 v8, 0x400, v48
	ds_read2_b64 v[20:23], v12 offset0:24 offset1:136
	v_add_u32_e32 v12, 0xc00, v48
	v_add_u32_e32 v24, 0x2800, v48
	ds_read2_b64 v[4:7], v48 offset1:112
	ds_read2_b64 v[0:3], v0 offset0:32 offset1:200
	ds_read2_b64 v[8:11], v8 offset0:96 offset1:208
	;; [unrolled: 1-line block ×4, first 2 shown]
	s_and_saveexec_b64 s[4:5], s[2:3]
	s_cbranch_execz .LBB0_31
; %bb.30:
	ds_read_b64 v[28:29], v48 offset:6272
	ds_read_b64 v[30:31], v48 offset:12992
.LBB0_31:
	s_or_b64 exec, exec, s[4:5]
	v_and_b32_e32 v50, 7, v40
	v_lshlrev_b32_e32 v44, 3, v50
	global_load_dwordx2 v[44:45], v44, s[8:9] offset:48
	s_movk_i32 s4, 0xf0
	s_waitcnt vmcnt(0) lgkmcnt(0)
	s_barrier
	s_movk_i32 s5, 0x5f0
	v_mul_f32_e32 v51, v45, v3
	v_fmac_f32_e32 v51, v44, v2
	v_mul_f32_e32 v2, v45, v2
	v_fma_f32 v3, v44, v3, -v2
	v_mul_f32_e32 v2, v45, v16
	v_mul_f32_e32 v52, v45, v17
	v_fma_f32 v17, v44, v17, -v2
	v_mul_f32_e32 v2, v45, v18
	;; [unrolled: 3-line block ×7, first 2 shown]
	v_mul_f32_e32 v2, v30, v45
	v_fmac_f32_e32 v58, v30, v44
	v_fma_f32 v30, v31, v44, -v2
	v_sub_f32_e32 v2, v4, v51
	v_sub_f32_e32 v3, v5, v3
	;; [unrolled: 1-line block ×3, first 2 shown]
	v_and_or_b32 v30, v46, s4, v50
	v_fmac_f32_e32 v52, v44, v16
	v_fma_f32 v4, v4, 2.0, -v2
	v_fma_f32 v5, v5, 2.0, -v3
	v_lshl_add_u32 v30, v30, 3, 0
	s_movk_i32 s4, 0x1f0
	v_sub_f32_e32 v16, v6, v52
	v_sub_f32_e32 v17, v7, v17
	ds_write2_b64 v30, v[4:5], v[2:3] offset1:8
	v_and_or_b32 v2, v38, s4, v50
	v_fmac_f32_e32 v53, v44, v18
	v_fma_f32 v6, v6, 2.0, -v16
	v_fma_f32 v7, v7, 2.0, -v17
	v_lshl_add_u32 v2, v2, 3, 0
	s_movk_i32 s4, 0x3f0
	v_sub_f32_e32 v18, v8, v53
	v_sub_f32_e32 v19, v9, v19
	ds_write2_b64 v2, v[6:7], v[16:17] offset1:8
	v_and_or_b32 v2, v36, s4, v50
	v_fmac_f32_e32 v54, v44, v20
	v_fma_f32 v8, v8, 2.0, -v18
	v_fma_f32 v9, v9, 2.0, -v19
	v_lshl_add_u32 v2, v2, 3, 0
	v_sub_f32_e32 v20, v10, v54
	v_sub_f32_e32 v21, v11, v21
	ds_write2_b64 v2, v[8:9], v[18:19] offset1:8
	v_and_or_b32 v2, v39, s4, v50
	v_fmac_f32_e32 v55, v44, v22
	v_fma_f32 v10, v10, 2.0, -v20
	v_fma_f32 v11, v11, 2.0, -v21
	v_lshl_add_u32 v2, v2, 3, 0
	s_movk_i32 s4, 0x7f0
	v_sub_f32_e32 v22, v12, v55
	v_sub_f32_e32 v23, v13, v23
	ds_write2_b64 v2, v[10:11], v[20:21] offset1:8
	v_and_or_b32 v2, v37, s4, v50
	v_fmac_f32_e32 v56, v44, v24
	v_fma_f32 v12, v12, 2.0, -v22
	v_fma_f32 v13, v13, 2.0, -v23
	v_lshl_add_u32 v2, v2, 3, 0
	v_sub_f32_e32 v24, v14, v56
	v_sub_f32_e32 v25, v15, v25
	ds_write2_b64 v2, v[12:13], v[22:23] offset1:8
	v_and_or_b32 v2, v35, s5, v50
	v_fmac_f32_e32 v57, v44, v26
	v_fma_f32 v14, v14, 2.0, -v24
	v_fma_f32 v15, v15, 2.0, -v25
	v_lshl_add_u32 v2, v2, 3, 0
	v_sub_f32_e32 v26, v0, v57
	v_sub_f32_e32 v27, v1, v27
	ds_write2_b64 v2, v[14:15], v[24:25] offset1:8
	v_and_or_b32 v2, v34, s4, v50
	v_fma_f32 v0, v0, 2.0, -v26
	v_fma_f32 v1, v1, 2.0, -v27
	v_sub_f32_e32 v44, v28, v58
	v_lshl_add_u32 v2, v2, 3, 0
	ds_write2_b64 v2, v[0:1], v[26:27] offset1:8
	s_and_saveexec_b64 s[4:5], s[2:3]
	s_cbranch_execz .LBB0_33
; %bb.32:
	s_movk_i32 s2, 0x6f0
	v_and_or_b32 v0, v47, s2, v50
	v_lshl_add_u32 v2, v0, 3, 0
	v_fma_f32 v1, v29, 2.0, -v45
	v_fma_f32 v0, v28, 2.0, -v44
	ds_write2_b64 v2, v[0:1], v[44:45] offset1:8
.LBB0_33:
	s_or_b64 exec, exec, s[4:5]
	v_and_b32_e32 v36, 15, v40
	v_lshlrev_b32_e32 v0, 4, v36
	s_waitcnt lgkmcnt(0)
	s_barrier
	global_load_dwordx4 v[4:7], v0, s[8:9] offset:112
	v_add_u32_e32 v12, 0x2000, v48
	v_add_u32_e32 v24, 0x2800, v48
	;; [unrolled: 1-line block ×3, first 2 shown]
	ds_read2_b64 v[8:11], v48 offset1:112
	v_add_u32_e32 v46, 0xc00, v48
	v_add_u32_e32 v47, 0x1400, v48
	v_add_u32_e32 v37, 0x400, v48
	ds_read_b64 v[34:35], v48 offset:12544
	ds_read2_b64 v[0:3], v46 offset0:64 offset1:176
	ds_read2_b64 v[12:15], v12 offset0:96 offset1:208
	;; [unrolled: 1-line block ×6, first 2 shown]
	s_waitcnt vmcnt(0) lgkmcnt(0)
	s_barrier
	v_cmp_gt_u32_e32 vcc, 16, v40
	v_mul_f32_e32 v38, v5, v3
	v_mul_f32_e32 v50, v7, v13
	;; [unrolled: 1-line block ×14, first 2 shown]
	v_fmac_f32_e32 v50, v6, v12
	v_fmac_f32_e32 v38, v4, v2
	v_mul_f32_e32 v55, v7, v14
	v_mul_f32_e32 v58, v7, v25
	;; [unrolled: 1-line block ×6, first 2 shown]
	v_fma_f32 v12, v6, v13, -v51
	v_fmac_f32_e32 v54, v6, v14
	v_fmac_f32_e32 v52, v4, v16
	v_fma_f32 v14, v4, v17, -v53
	v_fmac_f32_e32 v56, v4, v18
	v_fma_f32 v17, v4, v19, -v57
	v_fma_f32 v2, v4, v3, -v39
	;; [unrolled: 1-line block ×3, first 2 shown]
	v_fmac_f32_e32 v60, v28, v4
	v_fma_f32 v25, v29, v4, -v61
	v_fmac_f32_e32 v64, v30, v4
	v_fma_f32 v29, v31, v4, -v5
	v_add_f32_e32 v4, v38, v50
	v_fma_f32 v13, v6, v15, -v55
	v_fmac_f32_e32 v58, v6, v24
	v_fmac_f32_e32 v62, v26, v6
	v_fma_f32 v26, v27, v6, -v63
	v_fmac_f32_e32 v65, v34, v6
	v_fma_f32 v30, v35, v6, -v7
	v_add_f32_e32 v3, v8, v38
	v_add_f32_e32 v5, v9, v2
	;; [unrolled: 1-line block ×3, first 2 shown]
	v_fma_f32 v4, -0.5, v4, v8
	v_sub_f32_e32 v15, v2, v12
	v_add_f32_e32 v2, v3, v50
	v_add_f32_e32 v3, v5, v12
	v_fma_f32 v5, -0.5, v6, v9
	v_mov_b32_e32 v8, v4
	v_sub_f32_e32 v16, v38, v50
	v_fmac_f32_e32 v4, 0x3f5db3d7, v15
	v_mov_b32_e32 v9, v5
	v_fmac_f32_e32 v8, 0xbf5db3d7, v15
	v_add_f32_e32 v15, v56, v58
	v_add_f32_e32 v18, v52, v54
	v_fmac_f32_e32 v5, 0xbf5db3d7, v16
	v_fmac_f32_e32 v9, 0x3f5db3d7, v16
	v_fma_f32 v16, -0.5, v15, v20
	v_add_f32_e32 v7, v10, v52
	v_sub_f32_e32 v24, v14, v13
	v_add_f32_e32 v27, v11, v14
	v_add_f32_e32 v14, v14, v13
	v_fma_f32 v10, -0.5, v18, v10
	v_sub_f32_e32 v15, v17, v19
	v_mov_b32_e32 v18, v16
	v_fmac_f32_e32 v11, -0.5, v14
	v_fmac_f32_e32 v18, 0xbf5db3d7, v15
	v_fmac_f32_e32 v16, 0x3f5db3d7, v15
	v_add_f32_e32 v15, v21, v17
	v_add_f32_e32 v17, v17, v19
	v_add_f32_e32 v6, v7, v54
	v_add_f32_e32 v7, v27, v13
	v_sub_f32_e32 v14, v52, v54
	v_mov_b32_e32 v13, v11
	v_fma_f32 v17, -0.5, v17, v21
	v_fmac_f32_e32 v13, 0x3f5db3d7, v14
	v_fmac_f32_e32 v11, 0xbf5db3d7, v14
	v_add_f32_e32 v14, v20, v56
	v_add_f32_e32 v15, v15, v19
	v_sub_f32_e32 v20, v56, v58
	v_mov_b32_e32 v19, v17
	v_add_f32_e32 v21, v60, v62
	v_mov_b32_e32 v12, v10
	v_fmac_f32_e32 v19, 0x3f5db3d7, v20
	v_fmac_f32_e32 v17, 0xbf5db3d7, v20
	v_add_f32_e32 v20, v22, v60
	v_fma_f32 v22, -0.5, v21, v22
	v_fmac_f32_e32 v10, 0x3f5db3d7, v24
	v_fmac_f32_e32 v12, 0xbf5db3d7, v24
	v_sub_f32_e32 v21, v25, v26
	v_mov_b32_e32 v24, v22
	v_fmac_f32_e32 v24, 0xbf5db3d7, v21
	v_fmac_f32_e32 v22, 0x3f5db3d7, v21
	v_add_f32_e32 v21, v23, v25
	v_add_f32_e32 v25, v25, v26
	v_fmac_f32_e32 v23, -0.5, v25
	v_add_f32_e32 v21, v21, v26
	v_sub_f32_e32 v26, v60, v62
	v_mov_b32_e32 v25, v23
	v_add_f32_e32 v27, v64, v65
	v_fmac_f32_e32 v25, 0x3f5db3d7, v26
	v_fmac_f32_e32 v23, 0xbf5db3d7, v26
	v_add_f32_e32 v26, v0, v64
	v_fma_f32 v0, -0.5, v27, v0
	v_sub_f32_e32 v27, v29, v30
	v_mov_b32_e32 v28, v0
	v_fmac_f32_e32 v28, 0xbf5db3d7, v27
	v_fmac_f32_e32 v0, 0x3f5db3d7, v27
	v_add_f32_e32 v27, v1, v29
	v_add_f32_e32 v29, v29, v30
	v_fmac_f32_e32 v1, -0.5, v29
	v_add_f32_e32 v27, v27, v30
	v_sub_f32_e32 v30, v64, v65
	v_mov_b32_e32 v29, v1
	v_fmac_f32_e32 v29, 0x3f5db3d7, v30
	v_fmac_f32_e32 v1, 0xbf5db3d7, v30
	v_lshrrev_b32_e32 v30, 4, v40
	v_mul_u32_u24_e32 v30, 48, v30
	v_or_b32_e32 v30, v30, v36
	v_lshl_add_u32 v30, v30, 3, 0
	ds_write2_b64 v30, v[2:3], v[8:9] offset1:16
	ds_write_b64 v30, v[4:5] offset:256
	v_lshrrev_b32_e32 v2, 4, v49
	v_mul_u32_u24_e32 v2, 48, v2
	v_or_b32_e32 v2, v2, v36
	v_lshl_add_u32 v2, v2, 3, 0
	ds_write2_b64 v2, v[6:7], v[12:13] offset1:16
	ds_write_b64 v2, v[10:11] offset:256
	v_lshrrev_b32_e32 v2, 4, v41
	v_mul_u32_u24_e32 v2, 48, v2
	v_or_b32_e32 v2, v2, v36
	v_add_f32_e32 v14, v14, v58
	v_lshl_add_u32 v2, v2, 3, 0
	ds_write2_b64 v2, v[14:15], v[18:19] offset1:16
	ds_write_b64 v2, v[16:17] offset:256
	v_lshrrev_b32_e32 v2, 4, v33
	v_mul_u32_u24_e32 v2, 48, v2
	v_or_b32_e32 v2, v2, v36
	v_add_f32_e32 v20, v20, v62
	;; [unrolled: 7-line block ×3, first 2 shown]
	v_lshl_add_u32 v2, v2, 3, 0
	ds_write2_b64 v2, v[26:27], v[28:29] offset1:16
	ds_write_b64 v2, v[0:1] offset:256
	v_add_u32_e32 v2, 0x1c00, v48
	s_waitcnt lgkmcnt(0)
	s_barrier
	ds_read2_b64 v[12:15], v48 offset1:112
	ds_read2_b64 v[36:39], v37 offset0:112 offset1:224
	ds_read2_b64 v[32:35], v46 offset0:96 offset1:208
	;; [unrolled: 1-line block ×4, first 2 shown]
	v_add_u32_e32 v2, 0x2400, v48
	ds_read2_b64 v[16:19], v2 offset0:48 offset1:160
	v_add_u32_e32 v2, 0x2c00, v48
	ds_read2_b64 v[20:23], v2 offset0:32 offset1:144
                                        ; implicit-def: $vgpr5
                                        ; implicit-def: $vgpr9
                                        ; implicit-def: $vgpr47
	s_and_saveexec_b64 s[2:3], vcc
	s_cbranch_execz .LBB0_35
; %bb.34:
	v_add_u32_e32 v0, 0x700, v48
	ds_read2_b64 v[0:3], v0 offset1:240
	v_add_u32_e32 v4, 0x1600, v48
	v_add_u32_e32 v8, 0x2500, v48
	ds_read2_b64 v[4:7], v4 offset1:240
	ds_read2_b64 v[8:11], v8 offset1:240
	ds_read_b64 v[46:47], v48 offset:13312
	s_waitcnt lgkmcnt(3)
	v_mov_b32_e32 v45, v3
	v_mov_b32_e32 v44, v2
.LBB0_35:
	s_or_b64 exec, exec, s[2:3]
	s_movk_i32 s2, 0xab
	v_mul_lo_u16_sdwa v2, v40, s2 dst_sel:DWORD dst_unused:UNUSED_PAD src0_sel:BYTE_0 src1_sel:DWORD
	v_lshrrev_b16_e32 v62, 13, v2
	v_mul_lo_u16_e32 v2, 48, v62
	v_mul_lo_u16_sdwa v54, v49, s2 dst_sel:DWORD dst_unused:UNUSED_PAD src0_sel:BYTE_0 src1_sel:DWORD
	v_sub_u16_e32 v63, v40, v2
	v_mov_b32_e32 v2, 6
	v_lshrrev_b16_e32 v64, 13, v54
	v_mul_u32_u24_sdwa v3, v63, v2 dst_sel:DWORD dst_unused:UNUSED_PAD src0_sel:BYTE_0 src1_sel:DWORD
	v_mul_lo_u16_e32 v54, 48, v64
	v_lshlrev_b32_e32 v3, 3, v3
	v_sub_u16_e32 v65, v49, v54
	global_load_dwordx4 v[50:53], v3, s[8:9] offset:368
	v_mul_u32_u24_sdwa v2, v65, v2 dst_sel:DWORD dst_unused:UNUSED_PAD src0_sel:BYTE_0 src1_sel:DWORD
	v_lshlrev_b32_e32 v2, 3, v2
	global_load_dwordx4 v[54:57], v2, s[8:9] offset:368
	global_load_dwordx4 v[58:61], v3, s[8:9] offset:384
	s_mov_b32 s4, 0xbf5ff5aa
	s_mov_b32 s5, 0x3f3bfb3b
	;; [unrolled: 1-line block ×4, first 2 shown]
	s_waitcnt vmcnt(2) lgkmcnt(4)
	v_mul_f32_e32 v67, v53, v33
	v_mul_f32_e32 v66, v51, v37
	;; [unrolled: 1-line block ×4, first 2 shown]
	v_fmac_f32_e32 v67, v52, v32
	s_waitcnt vmcnt(1)
	v_mul_f32_e32 v70, v55, v39
	v_mul_f32_e32 v32, v55, v38
	v_fmac_f32_e32 v66, v50, v36
	v_fma_f32 v68, v50, v37, -v51
	v_fmac_f32_e32 v70, v54, v38
	v_fma_f32 v54, v54, v39, -v32
	global_load_dwordx4 v[36:39], v2, s[8:9] offset:384
	v_mul_f32_e32 v55, v57, v35
	v_mul_f32_e32 v32, v57, v34
	v_fma_f32 v69, v52, v33, -v53
	v_fmac_f32_e32 v55, v56, v34
	v_fma_f32 v56, v56, v35, -v32
	global_load_dwordx4 v[32:35], v3, s[8:9] offset:400
	s_waitcnt vmcnt(2) lgkmcnt(3)
	v_mul_f32_e32 v3, v59, v29
	v_mul_f32_e32 v50, v59, v28
	s_waitcnt lgkmcnt(2)
	v_mul_f32_e32 v57, v61, v25
	v_mul_f32_e32 v51, v61, v24
	v_fmac_f32_e32 v3, v58, v28
	v_fma_f32 v28, v58, v29, -v50
	v_fmac_f32_e32 v57, v60, v24
	v_fma_f32 v24, v60, v25, -v51
	global_load_dwordx4 v[50:53], v2, s[8:9] offset:400
	s_waitcnt vmcnt(0) lgkmcnt(0)
	s_barrier
	v_mul_f32_e32 v29, v31, v37
	v_mul_f32_e32 v2, v30, v37
	v_fmac_f32_e32 v29, v30, v36
	v_fma_f32 v30, v31, v36, -v2
	v_mul_f32_e32 v31, v27, v39
	v_fmac_f32_e32 v31, v26, v38
	v_mul_f32_e32 v2, v33, v17
	v_mul_f32_e32 v25, v33, v16
	;; [unrolled: 1-line block ×3, first 2 shown]
	v_fma_f32 v26, v27, v38, -v33
	v_mul_f32_e32 v27, v35, v21
	v_mul_f32_e32 v33, v35, v20
	v_fmac_f32_e32 v2, v32, v16
	v_fmac_f32_e32 v27, v34, v20
	v_fma_f32 v16, v32, v17, -v25
	v_mul_f32_e32 v35, v19, v51
	v_mul_f32_e32 v36, v18, v51
	;; [unrolled: 1-line block ×4, first 2 shown]
	v_fma_f32 v17, v34, v21, -v33
	v_fmac_f32_e32 v35, v18, v50
	v_add_f32_e32 v18, v66, v27
	v_add_f32_e32 v21, v67, v2
	v_fma_f32 v32, v19, v50, -v36
	v_fmac_f32_e32 v37, v22, v52
	v_fma_f32 v33, v23, v52, -v38
	v_add_f32_e32 v19, v68, v17
	v_sub_f32_e32 v20, v66, v27
	v_add_f32_e32 v22, v69, v16
	v_add_f32_e32 v23, v3, v57
	;; [unrolled: 1-line block ×3, first 2 shown]
	v_sub_f32_e32 v2, v67, v2
	v_add_f32_e32 v25, v28, v24
	v_sub_f32_e32 v3, v57, v3
	v_sub_f32_e32 v24, v24, v28
	v_add_f32_e32 v28, v22, v19
	v_sub_f32_e32 v34, v21, v18
	v_sub_f32_e32 v18, v18, v23
	;; [unrolled: 1-line block ×3, first 2 shown]
	v_add_f32_e32 v23, v23, v27
	v_sub_f32_e32 v17, v68, v17
	v_sub_f32_e32 v16, v69, v16
	;; [unrolled: 1-line block ×5, first 2 shown]
	v_add_f32_e32 v38, v3, v2
	v_sub_f32_e32 v50, v3, v2
	v_sub_f32_e32 v53, v2, v20
	v_add_f32_e32 v25, v25, v28
	v_add_f32_e32 v2, v23, v12
	;; [unrolled: 1-line block ×3, first 2 shown]
	v_sub_f32_e32 v51, v24, v16
	v_sub_f32_e32 v52, v20, v3
	;; [unrolled: 1-line block ×3, first 2 shown]
	v_add_f32_e32 v3, v25, v13
	v_mul_f32_e32 v27, 0x3f08b237, v50
	v_mov_b32_e32 v50, v2
	v_sub_f32_e32 v24, v17, v24
	v_add_f32_e32 v20, v38, v20
	v_add_f32_e32 v17, v39, v17
	v_mul_f32_e32 v12, 0x3f4a47b2, v18
	v_mul_f32_e32 v13, 0x3f4a47b2, v19
	;; [unrolled: 1-line block ×7, first 2 shown]
	v_fmac_f32_e32 v50, 0xbf955555, v23
	v_mov_b32_e32 v23, v3
	v_fmac_f32_e32 v23, 0xbf955555, v25
	v_fma_f32 v18, v34, s5, -v18
	v_fma_f32 v19, v36, s5, -v19
	;; [unrolled: 1-line block ×3, first 2 shown]
	v_fmac_f32_e32 v12, 0x3d64c772, v21
	v_fma_f32 v21, v36, s6, -v13
	v_fmac_f32_e32 v13, 0x3d64c772, v22
	v_fma_f32 v22, v53, s4, -v27
	;; [unrolled: 2-line block ×4, first 2 shown]
	v_fma_f32 v24, v24, s7, -v39
	v_add_f32_e32 v39, v13, v23
	v_add_f32_e32 v52, v19, v23
	;; [unrolled: 1-line block ×4, first 2 shown]
	v_fmac_f32_e32 v27, 0xbee1c552, v20
	v_fmac_f32_e32 v22, 0xbee1c552, v20
	;; [unrolled: 1-line block ×4, first 2 shown]
	v_add_f32_e32 v38, v12, v50
	v_add_f32_e32 v51, v18, v50
	v_fmac_f32_e32 v28, 0xbee1c552, v17
	v_fmac_f32_e32 v34, 0xbee1c552, v17
	v_sub_f32_e32 v13, v39, v27
	v_add_f32_e32 v16, v24, v25
	v_sub_f32_e32 v17, v23, v36
	v_add_f32_e32 v19, v22, v52
	v_sub_f32_e32 v21, v52, v22
	v_sub_f32_e32 v22, v25, v24
	v_add_f32_e32 v23, v36, v23
	v_add_f32_e32 v25, v27, v39
	;; [unrolled: 1-line block ×5, first 2 shown]
	v_sub_f32_e32 v18, v51, v34
	v_add_f32_e32 v20, v34, v51
	v_sub_f32_e32 v24, v38, v28
	v_add_f32_e32 v28, v54, v33
	;; [unrolled: 2-line block ×3, first 2 shown]
	v_add_f32_e32 v38, v29, v31
	v_add_f32_e32 v39, v30, v26
	v_sub_f32_e32 v26, v26, v30
	v_add_f32_e32 v30, v36, v27
	v_sub_f32_e32 v29, v31, v29
	v_add_f32_e32 v31, v37, v28
	v_add_f32_e32 v30, v38, v30
	v_sub_f32_e32 v33, v54, v33
	v_sub_f32_e32 v32, v56, v32
	v_add_f32_e32 v31, v39, v31
	v_add_f32_e32 v14, v30, v14
	v_sub_f32_e32 v35, v55, v35
	v_sub_f32_e32 v50, v36, v27
	;; [unrolled: 1-line block ×6, first 2 shown]
	v_add_f32_e32 v53, v26, v32
	v_sub_f32_e32 v55, v26, v32
	v_sub_f32_e32 v32, v32, v33
	v_add_f32_e32 v15, v31, v15
	v_mov_b32_e32 v56, v14
	v_sub_f32_e32 v28, v28, v39
	v_add_f32_e32 v52, v29, v35
	v_sub_f32_e32 v54, v29, v35
	v_sub_f32_e32 v26, v33, v26
	;; [unrolled: 1-line block ×3, first 2 shown]
	v_add_f32_e32 v33, v53, v33
	v_mul_f32_e32 v27, 0x3f4a47b2, v27
	v_mul_f32_e32 v38, 0x3d64c772, v36
	;; [unrolled: 1-line block ×5, first 2 shown]
	v_fmac_f32_e32 v56, 0xbf955555, v30
	v_mov_b32_e32 v30, v15
	v_sub_f32_e32 v29, v34, v29
	v_add_f32_e32 v34, v52, v34
	v_mul_f32_e32 v28, 0x3f4a47b2, v28
	v_mul_f32_e32 v52, 0x3f08b237, v54
	;; [unrolled: 1-line block ×3, first 2 shown]
	v_fmac_f32_e32 v30, 0xbf955555, v31
	v_fma_f32 v31, v50, s5, -v38
	v_fma_f32 v38, v51, s5, -v39
	;; [unrolled: 1-line block ×4, first 2 shown]
	v_fmac_f32_e32 v27, 0x3d64c772, v36
	v_fma_f32 v36, v51, s6, -v28
	v_fmac_f32_e32 v28, 0x3d64c772, v37
	v_fma_f32 v35, v35, s4, -v52
	;; [unrolled: 2-line block ×3, first 2 shown]
	v_add_f32_e32 v39, v39, v56
	v_fmac_f32_e32 v50, 0xbee1c552, v33
	v_fma_f32 v32, v32, s4, -v53
	v_fmac_f32_e32 v53, 0xbeae86e6, v26
	v_add_f32_e32 v54, v28, v30
	v_add_f32_e32 v38, v38, v30
	v_fmac_f32_e32 v52, 0xbee1c552, v34
	v_fmac_f32_e32 v35, 0xbee1c552, v34
	;; [unrolled: 1-line block ×3, first 2 shown]
	v_add_f32_e32 v28, v50, v39
	v_sub_f32_e32 v34, v39, v50
	v_mov_b32_e32 v39, 3
	v_add_f32_e32 v55, v31, v56
	v_fmac_f32_e32 v53, 0xbee1c552, v33
	v_fmac_f32_e32 v32, 0xbee1c552, v33
	v_add_f32_e32 v31, v35, v38
	v_sub_f32_e32 v33, v38, v35
	v_mul_u32_u24_e32 v38, 0xa80, v62
	v_lshlrev_b32_sdwa v50, v39, v63 dst_sel:DWORD dst_unused:UNUSED_PAD src0_sel:DWORD src1_sel:BYTE_0
	v_add3_u32 v38, 0, v38, v50
	v_add_f32_e32 v51, v27, v56
	ds_write2_b64 v38, v[2:3], v[12:13] offset1:48
	ds_write2_b64 v38, v[16:17], v[18:19] offset0:96 offset1:144
	ds_write2_b64 v38, v[20:21], v[22:23] offset0:192 offset1:240
	ds_write_b64 v38, v[24:25] offset:2304
	v_mul_u32_u24_e32 v2, 0xa80, v64
	v_lshlrev_b32_sdwa v3, v39, v65 dst_sel:DWORD dst_unused:UNUSED_PAD src0_sel:DWORD src1_sel:BYTE_0
	v_add_f32_e32 v36, v36, v30
	v_add_f32_e32 v26, v53, v51
	v_sub_f32_e32 v27, v54, v52
	v_add3_u32 v2, 0, v2, v3
	v_sub_f32_e32 v29, v36, v37
	v_sub_f32_e32 v30, v55, v32
	v_add_f32_e32 v32, v32, v55
	v_add_f32_e32 v35, v37, v36
	v_sub_f32_e32 v36, v51, v53
	v_add_f32_e32 v37, v52, v54
	ds_write2_b64 v2, v[14:15], v[26:27] offset1:48
	ds_write2_b64 v2, v[28:29], v[30:31] offset0:96 offset1:144
	ds_write2_b64 v2, v[32:33], v[34:35] offset0:192 offset1:240
	ds_write_b64 v2, v[36:37] offset:2304
	s_and_saveexec_b64 s[2:3], vcc
	s_cbranch_execz .LBB0_37
; %bb.36:
	s_mov_b32 s10, 0xaaab
	v_mul_u32_u24_sdwa v2, v41, s10 dst_sel:DWORD dst_unused:UNUSED_PAD src0_sel:WORD_0 src1_sel:DWORD
	v_lshrrev_b32_e32 v2, 21, v2
	v_mul_lo_u16_e32 v2, 48, v2
	v_sub_u16_e32 v24, v41, v2
	v_mul_u32_u24_e32 v2, 6, v24
	v_lshlrev_b32_e32 v2, 3, v2
	global_load_dwordx4 v[12:15], v2, s[8:9] offset:368
	global_load_dwordx4 v[16:19], v2, s[8:9] offset:400
	;; [unrolled: 1-line block ×3, first 2 shown]
	s_waitcnt vmcnt(2)
	v_mul_f32_e32 v2, v45, v13
	s_waitcnt vmcnt(1)
	v_mul_f32_e32 v3, v47, v19
	;; [unrolled: 2-line block ×3, first 2 shown]
	v_mul_f32_e32 v26, v7, v21
	v_mul_f32_e32 v27, v5, v15
	v_mul_f32_e32 v28, v11, v17
	v_mul_f32_e32 v19, v46, v19
	v_mul_f32_e32 v13, v44, v13
	v_mul_f32_e32 v21, v6, v21
	v_mul_f32_e32 v23, v8, v23
	v_mul_f32_e32 v17, v10, v17
	v_mul_f32_e32 v15, v4, v15
	v_fmac_f32_e32 v2, v44, v12
	v_fmac_f32_e32 v3, v46, v18
	;; [unrolled: 1-line block ×6, first 2 shown]
	v_fma_f32 v4, v47, v18, -v19
	v_fma_f32 v6, v45, v12, -v13
	;; [unrolled: 1-line block ×6, first 2 shown]
	v_sub_f32_e32 v10, v2, v3
	v_sub_f32_e32 v11, v25, v26
	;; [unrolled: 1-line block ×3, first 2 shown]
	v_add_f32_e32 v13, v6, v4
	v_add_f32_e32 v14, v7, v8
	;; [unrolled: 1-line block ×6, first 2 shown]
	v_sub_f32_e32 v4, v6, v4
	v_sub_f32_e32 v6, v8, v7
	;; [unrolled: 1-line block ×5, first 2 shown]
	v_add_f32_e32 v9, v11, v12
	v_sub_f32_e32 v11, v13, v14
	v_add_f32_e32 v18, v15, v13
	v_sub_f32_e32 v19, v2, v3
	;; [unrolled: 2-line block ×3, first 2 shown]
	v_sub_f32_e32 v20, v3, v16
	v_sub_f32_e32 v23, v6, v7
	;; [unrolled: 1-line block ×4, first 2 shown]
	v_mul_f32_e32 v2, 0x3f4a47b2, v11
	v_add_f32_e32 v11, v14, v18
	v_mul_f32_e32 v14, 0x3f4a47b2, v19
	v_add_f32_e32 v3, v3, v21
	v_sub_f32_e32 v22, v4, v6
	v_add_f32_e32 v6, v6, v7
	v_mul_f32_e32 v18, 0x3f08b237, v23
	v_mov_b32_e32 v23, v2
	v_add_f32_e32 v1, v1, v11
	v_mov_b32_e32 v25, v14
	v_add_f32_e32 v0, v0, v3
	v_sub_f32_e32 v27, v7, v4
	v_sub_f32_e32 v12, v12, v10
	v_mul_f32_e32 v8, 0x3f08b237, v8
	v_add_f32_e32 v9, v9, v10
	v_mul_f32_e32 v10, 0x3d64c772, v17
	v_mul_f32_e32 v16, 0x3d64c772, v20
	v_add_f32_e32 v6, v6, v4
	v_mov_b32_e32 v26, v18
	v_fmac_f32_e32 v23, 0x3d64c772, v17
	v_mov_b32_e32 v17, v1
	v_fmac_f32_e32 v25, 0x3d64c772, v20
	v_mov_b32_e32 v20, v0
	v_mul_f32_e32 v4, 0xbf5ff5aa, v27
	v_mul_f32_e32 v19, 0xbf5ff5aa, v12
	v_mov_b32_e32 v21, v8
	v_fmac_f32_e32 v26, 0xbeae86e6, v22
	v_fmac_f32_e32 v17, 0xbf955555, v11
	;; [unrolled: 1-line block ×3, first 2 shown]
	v_fma_f32 v14, v15, s6, -v14
	v_fma_f32 v22, v22, s7, -v4
	;; [unrolled: 1-line block ×6, first 2 shown]
	v_fmac_f32_e32 v21, 0xbeae86e6, v5
	v_fmac_f32_e32 v26, 0xbee1c552, v6
	v_add_f32_e32 v14, v14, v20
	v_fmac_f32_e32 v22, 0xbee1c552, v6
	v_add_f32_e32 v10, v7, v17
	v_fmac_f32_e32 v8, 0xbee1c552, v9
	v_fmac_f32_e32 v12, 0xbee1c552, v6
	v_fma_f32 v6, v15, s5, -v16
	v_fma_f32 v2, v13, s6, -v2
	v_fmac_f32_e32 v19, 0xbee1c552, v9
	v_fmac_f32_e32 v21, 0xbee1c552, v9
	v_add_f32_e32 v23, v23, v17
	v_add_f32_e32 v25, v25, v20
	v_sub_f32_e32 v4, v14, v22
	v_sub_f32_e32 v7, v10, v8
	v_add_f32_e32 v13, v6, v20
	v_add_f32_e32 v9, v8, v10
	v_add_f32_e32 v10, v22, v14
	v_lshl_add_u32 v14, v24, 3, 0
	v_add_f32_e32 v11, v2, v17
	v_add_f32_e32 v6, v12, v13
	v_sub_f32_e32 v8, v13, v12
	v_sub_f32_e32 v13, v23, v21
	v_add_f32_e32 v12, v26, v25
	v_add_u32_e32 v15, 0x2800, v14
	v_add_f32_e32 v5, v19, v11
	v_sub_f32_e32 v11, v11, v19
	ds_write2_b64 v15, v[0:1], v[12:13] offset0:64 offset1:112
	ds_write2_b64 v15, v[10:11], v[8:9] offset0:160 offset1:208
	v_add_u32_e32 v0, 0x3000, v14
	v_add_f32_e32 v3, v21, v23
	v_sub_f32_e32 v2, v25, v26
	ds_write2_b64 v0, v[6:7], v[4:5] offset1:48
	ds_write_b64 v14, v[2:3] offset:13056
.LBB0_37:
	s_or_b64 exec, exec, s[2:3]
	v_lshlrev_b32_e32 v0, 2, v40
	v_mov_b32_e32 v1, 0
	v_lshlrev_b64 v[2:3], 3, v[0:1]
	v_mov_b32_e32 v20, s9
	v_add_co_u32_e32 v10, vcc, s8, v2
	v_addc_co_u32_e32 v11, vcc, v20, v3, vcc
	v_lshlrev_b32_e32 v0, 2, v49
	s_waitcnt lgkmcnt(0)
	s_barrier
	global_load_dwordx4 v[2:5], v[10:11], off offset:2672
	global_load_dwordx4 v[6:9], v[10:11], off offset:2688
	v_lshlrev_b64 v[10:11], 3, v[0:1]
	v_lshlrev_b32_e32 v0, 2, v41
	v_add_co_u32_e32 v18, vcc, s8, v10
	v_addc_co_u32_e32 v19, vcc, v20, v11, vcc
	global_load_dwordx4 v[10:13], v[18:19], off offset:2672
	global_load_dwordx4 v[14:17], v[18:19], off offset:2688
	v_lshlrev_b64 v[18:19], 3, v[0:1]
	v_add_u32_e32 v0, 0x400, v48
	v_add_co_u32_e32 v26, vcc, s8, v18
	v_addc_co_u32_e32 v27, vcc, v20, v19, vcc
	global_load_dwordx4 v[18:21], v[26:27], off offset:2672
	global_load_dwordx4 v[22:25], v[26:27], off offset:2688
	v_add_u32_e32 v34, 0x1000, v48
	v_add_u32_e32 v38, 0x1c00, v48
	;; [unrolled: 1-line block ×4, first 2 shown]
	ds_read2_b64 v[26:29], v48 offset1:112
	v_add_u32_e32 v41, 0xc00, v48
	v_add_u32_e32 v61, 0x1800, v48
	ds_read2_b64 v[30:33], v0 offset0:96 offset1:208
	ds_read2_b64 v[34:37], v34 offset0:48 offset1:160
	;; [unrolled: 1-line block ×4, first 2 shown]
	ds_read2_b32 v[38:39], v41 offset0:128 offset1:129
	ds_read2_b64 v[53:56], v61 offset0:16 offset1:128
	ds_read2_b64 v[57:60], v57 offset0:48 offset1:160
	s_waitcnt vmcnt(0) lgkmcnt(0)
	s_barrier
	v_mul_f32_e32 v62, v3, v33
	v_mul_f32_e32 v3, v3, v32
	;; [unrolled: 1-line block ×8, first 2 shown]
	v_fmac_f32_e32 v62, v2, v32
	v_fma_f32 v32, v2, v33, -v3
	v_fmac_f32_e32 v63, v4, v36
	v_fmac_f32_e32 v64, v6, v44
	v_fma_f32 v36, v6, v45, -v7
	v_mul_f32_e32 v44, v39, v11
	v_mul_f32_e32 v2, v11, v38
	;; [unrolled: 1-line block ×4, first 2 shown]
	v_fma_f32 v33, v4, v37, -v5
	v_fmac_f32_e32 v65, v8, v51
	v_fma_f32 v37, v8, v52, -v9
	v_mul_f32_e32 v51, v47, v15
	v_mul_f32_e32 v4, v46, v15
	;; [unrolled: 1-line block ×3, first 2 shown]
	v_fmac_f32_e32 v44, v10, v38
	v_fma_f32 v38, v39, v10, -v2
	v_fmac_f32_e32 v45, v53, v12
	v_fma_f32 v39, v54, v12, -v3
	v_mul_f32_e32 v53, v35, v19
	v_mul_f32_e32 v2, v34, v19
	;; [unrolled: 1-line block ×4, first 2 shown]
	v_fmac_f32_e32 v51, v46, v14
	v_fma_f32 v46, v47, v14, -v4
	v_fmac_f32_e32 v52, v57, v16
	v_mul_f32_e32 v57, v50, v23
	v_mul_f32_e32 v4, v49, v23
	v_fmac_f32_e32 v53, v34, v18
	v_fma_f32 v34, v35, v18, -v2
	v_fma_f32 v35, v56, v20, -v3
	v_add_f32_e32 v3, v63, v64
	v_fmac_f32_e32 v57, v49, v22
	v_fma_f32 v49, v50, v22, -v4
	v_fma_f32 v4, -0.5, v3, v26
	v_sub_f32_e32 v3, v32, v37
	v_mov_b32_e32 v6, v4
	v_fma_f32 v47, v58, v16, -v5
	v_fmac_f32_e32 v6, 0xbf737871, v3
	v_sub_f32_e32 v5, v33, v36
	v_sub_f32_e32 v7, v62, v63
	;; [unrolled: 1-line block ×3, first 2 shown]
	v_fmac_f32_e32 v4, 0x3f737871, v3
	v_fmac_f32_e32 v6, 0xbf167918, v5
	v_add_f32_e32 v7, v7, v8
	v_fmac_f32_e32 v4, 0x3f167918, v5
	v_fmac_f32_e32 v6, 0x3e9e377a, v7
	;; [unrolled: 1-line block ×3, first 2 shown]
	v_add_f32_e32 v7, v62, v65
	v_fma_f32 v8, -0.5, v7, v26
	v_mov_b32_e32 v10, v8
	v_fmac_f32_e32 v10, 0x3f737871, v5
	v_sub_f32_e32 v7, v63, v62
	v_sub_f32_e32 v9, v64, v65
	v_fmac_f32_e32 v8, 0xbf737871, v5
	v_add_f32_e32 v5, v33, v36
	v_fmac_f32_e32 v10, 0xbf167918, v3
	v_add_f32_e32 v7, v7, v9
	v_fmac_f32_e32 v8, 0x3f167918, v3
	v_fma_f32 v5, -0.5, v5, v27
	v_fmac_f32_e32 v10, 0x3e9e377a, v7
	v_fmac_f32_e32 v8, 0x3e9e377a, v7
	v_sub_f32_e32 v12, v62, v65
	v_mov_b32_e32 v7, v5
	v_fmac_f32_e32 v7, 0x3f737871, v12
	v_sub_f32_e32 v13, v63, v64
	v_sub_f32_e32 v9, v32, v33
	;; [unrolled: 1-line block ×3, first 2 shown]
	v_fmac_f32_e32 v5, 0xbf737871, v12
	v_fmac_f32_e32 v7, 0x3f167918, v13
	v_add_f32_e32 v9, v9, v11
	v_fmac_f32_e32 v5, 0xbf167918, v13
	v_fmac_f32_e32 v7, 0x3e9e377a, v9
	v_fmac_f32_e32 v5, 0x3e9e377a, v9
	v_add_f32_e32 v9, v32, v37
	v_fma_f32 v9, -0.5, v9, v27
	v_mov_b32_e32 v11, v9
	v_fmac_f32_e32 v11, 0xbf737871, v13
	v_sub_f32_e32 v14, v33, v32
	v_sub_f32_e32 v15, v36, v37
	v_fmac_f32_e32 v9, 0x3f737871, v13
	v_fmac_f32_e32 v11, 0x3f167918, v12
	v_add_f32_e32 v14, v14, v15
	v_fmac_f32_e32 v9, 0xbf167918, v12
	v_add_f32_e32 v13, v45, v51
	v_fmac_f32_e32 v11, 0x3e9e377a, v14
	v_fmac_f32_e32 v9, 0x3e9e377a, v14
	v_fma_f32 v14, -0.5, v13, v28
	v_sub_f32_e32 v13, v38, v47
	v_mov_b32_e32 v16, v14
	v_fmac_f32_e32 v16, 0xbf737871, v13
	v_sub_f32_e32 v15, v39, v46
	v_sub_f32_e32 v17, v44, v45
	v_sub_f32_e32 v18, v52, v51
	v_fmac_f32_e32 v14, 0x3f737871, v13
	v_fmac_f32_e32 v16, 0xbf167918, v15
	v_add_f32_e32 v17, v17, v18
	v_fmac_f32_e32 v14, 0x3f167918, v15
	v_fmac_f32_e32 v16, 0x3e9e377a, v17
	;; [unrolled: 1-line block ×3, first 2 shown]
	v_add_f32_e32 v17, v44, v52
	v_add_f32_e32 v12, v28, v44
	v_fma_f32 v28, -0.5, v17, v28
	v_mov_b32_e32 v18, v28
	v_fmac_f32_e32 v18, 0x3f737871, v15
	v_sub_f32_e32 v17, v45, v44
	v_sub_f32_e32 v19, v51, v52
	v_fmac_f32_e32 v28, 0xbf737871, v15
	v_add_f32_e32 v15, v39, v46
	v_mul_f32_e32 v54, v56, v21
	v_fmac_f32_e32 v18, 0xbf167918, v13
	v_add_f32_e32 v17, v17, v19
	v_fmac_f32_e32 v28, 0x3f167918, v13
	v_fma_f32 v15, -0.5, v15, v29
	v_fmac_f32_e32 v54, v55, v20
	v_fmac_f32_e32 v18, 0x3e9e377a, v17
	;; [unrolled: 1-line block ×3, first 2 shown]
	v_sub_f32_e32 v20, v44, v52
	v_mov_b32_e32 v17, v15
	v_fmac_f32_e32 v17, 0x3f737871, v20
	v_sub_f32_e32 v21, v45, v51
	v_sub_f32_e32 v19, v38, v39
	;; [unrolled: 1-line block ×3, first 2 shown]
	v_fmac_f32_e32 v15, 0xbf737871, v20
	v_fmac_f32_e32 v17, 0x3f167918, v21
	v_add_f32_e32 v19, v19, v22
	v_fmac_f32_e32 v15, 0xbf167918, v21
	v_fmac_f32_e32 v17, 0x3e9e377a, v19
	;; [unrolled: 1-line block ×3, first 2 shown]
	v_add_f32_e32 v19, v38, v47
	v_add_f32_e32 v13, v29, v38
	v_fmac_f32_e32 v29, -0.5, v19
	v_mov_b32_e32 v19, v29
	v_fmac_f32_e32 v19, 0xbf737871, v21
	v_sub_f32_e32 v22, v39, v38
	v_sub_f32_e32 v23, v46, v47
	v_fmac_f32_e32 v29, 0x3f737871, v21
	v_mul_f32_e32 v2, v59, v25
	v_fmac_f32_e32 v19, 0x3f167918, v20
	v_add_f32_e32 v22, v22, v23
	v_fmac_f32_e32 v29, 0xbf167918, v20
	v_add_f32_e32 v21, v54, v57
	v_mul_f32_e32 v50, v60, v25
	v_fma_f32 v55, v60, v24, -v2
	v_fmac_f32_e32 v19, 0x3e9e377a, v22
	v_fmac_f32_e32 v29, 0x3e9e377a, v22
	v_fma_f32 v22, -0.5, v21, v30
	v_fmac_f32_e32 v50, v59, v24
	v_sub_f32_e32 v21, v34, v55
	v_mov_b32_e32 v24, v22
	v_add_f32_e32 v2, v26, v62
	v_fmac_f32_e32 v24, 0xbf737871, v21
	v_sub_f32_e32 v23, v35, v49
	v_sub_f32_e32 v25, v53, v54
	;; [unrolled: 1-line block ×3, first 2 shown]
	v_fmac_f32_e32 v22, 0x3f737871, v21
	v_fmac_f32_e32 v24, 0xbf167918, v23
	v_add_f32_e32 v25, v25, v26
	v_fmac_f32_e32 v22, 0x3f167918, v23
	v_fmac_f32_e32 v24, 0x3e9e377a, v25
	;; [unrolled: 1-line block ×3, first 2 shown]
	v_add_f32_e32 v25, v53, v50
	v_add_f32_e32 v20, v30, v53
	v_fma_f32 v30, -0.5, v25, v30
	v_mov_b32_e32 v26, v30
	v_add_f32_e32 v3, v27, v32
	v_fmac_f32_e32 v26, 0x3f737871, v23
	v_sub_f32_e32 v25, v54, v53
	v_sub_f32_e32 v27, v57, v50
	v_fmac_f32_e32 v30, 0xbf737871, v23
	v_add_f32_e32 v23, v35, v49
	v_fmac_f32_e32 v26, 0xbf167918, v21
	v_add_f32_e32 v25, v25, v27
	v_fmac_f32_e32 v30, 0x3f167918, v21
	v_fma_f32 v23, -0.5, v23, v31
	v_add_f32_e32 v3, v3, v33
	v_fmac_f32_e32 v26, 0x3e9e377a, v25
	v_fmac_f32_e32 v30, 0x3e9e377a, v25
	v_sub_f32_e32 v32, v53, v50
	v_mov_b32_e32 v25, v23
	v_add_f32_e32 v3, v3, v36
	v_fmac_f32_e32 v25, 0x3f737871, v32
	v_sub_f32_e32 v33, v54, v57
	v_sub_f32_e32 v27, v34, v35
	;; [unrolled: 1-line block ×3, first 2 shown]
	v_fmac_f32_e32 v23, 0xbf737871, v32
	v_fmac_f32_e32 v25, 0x3f167918, v33
	v_add_f32_e32 v27, v27, v36
	v_fmac_f32_e32 v23, 0xbf167918, v33
	v_add_f32_e32 v2, v2, v63
	v_add_f32_e32 v12, v12, v45
	;; [unrolled: 1-line block ×3, first 2 shown]
	v_fmac_f32_e32 v25, 0x3e9e377a, v27
	v_fmac_f32_e32 v23, 0x3e9e377a, v27
	v_add_f32_e32 v27, v34, v55
	v_add_f32_e32 v2, v2, v64
	;; [unrolled: 1-line block ×5, first 2 shown]
	v_fmac_f32_e32 v31, -0.5, v27
	v_add_f32_e32 v2, v2, v65
	v_add_f32_e32 v3, v3, v37
	;; [unrolled: 1-line block ×4, first 2 shown]
	v_mov_b32_e32 v27, v31
	v_add_f32_e32 v20, v20, v54
	v_add_f32_e32 v21, v21, v35
	v_fmac_f32_e32 v27, 0xbf737871, v33
	v_sub_f32_e32 v34, v35, v34
	v_sub_f32_e32 v35, v49, v55
	v_fmac_f32_e32 v31, 0x3f737871, v33
	ds_write2_b64 v48, v[2:3], v[12:13] offset1:112
	v_add_u32_e32 v2, 0x1400, v48
	v_add_f32_e32 v20, v20, v57
	v_add_f32_e32 v21, v21, v49
	v_fmac_f32_e32 v27, 0x3f167918, v32
	v_add_f32_e32 v34, v34, v35
	v_fmac_f32_e32 v31, 0xbf167918, v32
	ds_write2_b64 v2, v[10:11], v[18:19] offset0:32 offset1:144
	v_add_u32_e32 v2, 0x2800, v48
	v_add_f32_e32 v20, v20, v50
	v_add_f32_e32 v21, v21, v55
	v_fmac_f32_e32 v27, 0x3e9e377a, v34
	v_fmac_f32_e32 v31, 0x3e9e377a, v34
	ds_write2_b64 v2, v[4:5], v[14:15] offset0:64 offset1:176
	ds_write2_b64 v0, v[20:21], v[6:7] offset0:96 offset1:208
	;; [unrolled: 1-line block ×4, first 2 shown]
	v_add_u32_e32 v0, 0x2000, v48
	ds_write2_b64 v0, v[28:29], v[30:31] offset0:96 offset1:208
	ds_write_b64 v48, v[22:23] offset:12544
	s_waitcnt lgkmcnt(0)
	s_barrier
	s_and_saveexec_b64 s[2:3], s[0:1]
	s_cbranch_execz .LBB0_39
; %bb.38:
	v_lshl_add_u32 v8, v40, 3, 0
	v_mov_b32_e32 v41, v1
	ds_read2_b64 v[2:5], v8 offset1:112
	v_mov_b32_e32 v0, s13
	v_add_co_u32_e32 v9, vcc, s12, v42
	v_lshlrev_b64 v[6:7], 3, v[40:41]
	v_addc_co_u32_e32 v10, vcc, v0, v43, vcc
	v_add_co_u32_e32 v6, vcc, v9, v6
	v_addc_co_u32_e32 v7, vcc, v10, v7, vcc
	v_add_u32_e32 v0, 0x70, v40
	s_waitcnt lgkmcnt(0)
	global_store_dwordx2 v[6:7], v[2:3], off
	v_lshlrev_b64 v[2:3], 3, v[0:1]
	v_add_u32_e32 v0, 0xe0, v40
	v_add_co_u32_e32 v2, vcc, v9, v2
	v_addc_co_u32_e32 v3, vcc, v10, v3, vcc
	global_store_dwordx2 v[2:3], v[4:5], off
	v_add_u32_e32 v2, 0x400, v8
	ds_read2_b64 v[2:5], v2 offset0:96 offset1:208
	v_lshlrev_b64 v[6:7], 3, v[0:1]
	v_add_u32_e32 v0, 0x150, v40
	v_add_co_u32_e32 v6, vcc, v9, v6
	v_addc_co_u32_e32 v7, vcc, v10, v7, vcc
	s_waitcnt lgkmcnt(0)
	global_store_dwordx2 v[6:7], v[2:3], off
	v_lshlrev_b64 v[2:3], 3, v[0:1]
	v_add_u32_e32 v0, 0x1c0, v40
	v_add_co_u32_e32 v2, vcc, v9, v2
	v_addc_co_u32_e32 v3, vcc, v10, v3, vcc
	global_store_dwordx2 v[2:3], v[4:5], off
	v_add_u32_e32 v2, 0xc00, v8
	ds_read2_b64 v[2:5], v2 offset0:64 offset1:176
	v_lshlrev_b64 v[6:7], 3, v[0:1]
	v_add_u32_e32 v0, 0x230, v40
	v_add_co_u32_e32 v6, vcc, v9, v6
	v_addc_co_u32_e32 v7, vcc, v10, v7, vcc
	;; [unrolled: 13-line block ×6, first 2 shown]
	s_waitcnt lgkmcnt(0)
	global_store_dwordx2 v[6:7], v[2:3], off
	v_lshlrev_b64 v[2:3], 3, v[0:1]
	v_add_u32_e32 v0, 0x620, v40
	v_add_co_u32_e32 v2, vcc, v9, v2
	v_addc_co_u32_e32 v3, vcc, v10, v3, vcc
	global_store_dwordx2 v[2:3], v[4:5], off
	ds_read_b64 v[2:3], v8 offset:12544
	v_lshlrev_b64 v[0:1], 3, v[0:1]
	v_add_co_u32_e32 v0, vcc, v9, v0
	v_addc_co_u32_e32 v1, vcc, v10, v1, vcc
	s_waitcnt lgkmcnt(0)
	global_store_dwordx2 v[0:1], v[2:3], off
.LBB0_39:
	s_endpgm
	.section	.rodata,"a",@progbits
	.p2align	6, 0x0
	.amdhsa_kernel fft_rtc_back_len1680_factors_2_2_2_2_3_7_5_wgs_112_tpt_112_halfLds_sp_ip_CI_unitstride_sbrr_C2R_dirReg
		.amdhsa_group_segment_fixed_size 0
		.amdhsa_private_segment_fixed_size 0
		.amdhsa_kernarg_size 88
		.amdhsa_user_sgpr_count 6
		.amdhsa_user_sgpr_private_segment_buffer 1
		.amdhsa_user_sgpr_dispatch_ptr 0
		.amdhsa_user_sgpr_queue_ptr 0
		.amdhsa_user_sgpr_kernarg_segment_ptr 1
		.amdhsa_user_sgpr_dispatch_id 0
		.amdhsa_user_sgpr_flat_scratch_init 0
		.amdhsa_user_sgpr_private_segment_size 0
		.amdhsa_uses_dynamic_stack 0
		.amdhsa_system_sgpr_private_segment_wavefront_offset 0
		.amdhsa_system_sgpr_workgroup_id_x 1
		.amdhsa_system_sgpr_workgroup_id_y 0
		.amdhsa_system_sgpr_workgroup_id_z 0
		.amdhsa_system_sgpr_workgroup_info 0
		.amdhsa_system_vgpr_workitem_id 0
		.amdhsa_next_free_vgpr 71
		.amdhsa_next_free_sgpr 22
		.amdhsa_reserve_vcc 1
		.amdhsa_reserve_flat_scratch 0
		.amdhsa_float_round_mode_32 0
		.amdhsa_float_round_mode_16_64 0
		.amdhsa_float_denorm_mode_32 3
		.amdhsa_float_denorm_mode_16_64 3
		.amdhsa_dx10_clamp 1
		.amdhsa_ieee_mode 1
		.amdhsa_fp16_overflow 0
		.amdhsa_exception_fp_ieee_invalid_op 0
		.amdhsa_exception_fp_denorm_src 0
		.amdhsa_exception_fp_ieee_div_zero 0
		.amdhsa_exception_fp_ieee_overflow 0
		.amdhsa_exception_fp_ieee_underflow 0
		.amdhsa_exception_fp_ieee_inexact 0
		.amdhsa_exception_int_div_zero 0
	.end_amdhsa_kernel
	.text
.Lfunc_end0:
	.size	fft_rtc_back_len1680_factors_2_2_2_2_3_7_5_wgs_112_tpt_112_halfLds_sp_ip_CI_unitstride_sbrr_C2R_dirReg, .Lfunc_end0-fft_rtc_back_len1680_factors_2_2_2_2_3_7_5_wgs_112_tpt_112_halfLds_sp_ip_CI_unitstride_sbrr_C2R_dirReg
                                        ; -- End function
	.section	.AMDGPU.csdata,"",@progbits
; Kernel info:
; codeLenInByte = 11004
; NumSgprs: 26
; NumVgprs: 71
; ScratchSize: 0
; MemoryBound: 0
; FloatMode: 240
; IeeeMode: 1
; LDSByteSize: 0 bytes/workgroup (compile time only)
; SGPRBlocks: 3
; VGPRBlocks: 17
; NumSGPRsForWavesPerEU: 26
; NumVGPRsForWavesPerEU: 71
; Occupancy: 3
; WaveLimiterHint : 1
; COMPUTE_PGM_RSRC2:SCRATCH_EN: 0
; COMPUTE_PGM_RSRC2:USER_SGPR: 6
; COMPUTE_PGM_RSRC2:TRAP_HANDLER: 0
; COMPUTE_PGM_RSRC2:TGID_X_EN: 1
; COMPUTE_PGM_RSRC2:TGID_Y_EN: 0
; COMPUTE_PGM_RSRC2:TGID_Z_EN: 0
; COMPUTE_PGM_RSRC2:TIDIG_COMP_CNT: 0
	.type	__hip_cuid_89d933d1df669731,@object ; @__hip_cuid_89d933d1df669731
	.section	.bss,"aw",@nobits
	.globl	__hip_cuid_89d933d1df669731
__hip_cuid_89d933d1df669731:
	.byte	0                               ; 0x0
	.size	__hip_cuid_89d933d1df669731, 1

	.ident	"AMD clang version 19.0.0git (https://github.com/RadeonOpenCompute/llvm-project roc-6.4.0 25133 c7fe45cf4b819c5991fe208aaa96edf142730f1d)"
	.section	".note.GNU-stack","",@progbits
	.addrsig
	.addrsig_sym __hip_cuid_89d933d1df669731
	.amdgpu_metadata
---
amdhsa.kernels:
  - .args:
      - .actual_access:  read_only
        .address_space:  global
        .offset:         0
        .size:           8
        .value_kind:     global_buffer
      - .offset:         8
        .size:           8
        .value_kind:     by_value
      - .actual_access:  read_only
        .address_space:  global
        .offset:         16
        .size:           8
        .value_kind:     global_buffer
      - .actual_access:  read_only
        .address_space:  global
        .offset:         24
        .size:           8
        .value_kind:     global_buffer
      - .offset:         32
        .size:           8
        .value_kind:     by_value
      - .actual_access:  read_only
        .address_space:  global
        .offset:         40
        .size:           8
        .value_kind:     global_buffer
      - .actual_access:  read_only
        .address_space:  global
        .offset:         48
        .size:           8
        .value_kind:     global_buffer
      - .offset:         56
        .size:           4
        .value_kind:     by_value
      - .actual_access:  read_only
        .address_space:  global
        .offset:         64
        .size:           8
        .value_kind:     global_buffer
      - .actual_access:  read_only
        .address_space:  global
        .offset:         72
        .size:           8
        .value_kind:     global_buffer
      - .address_space:  global
        .offset:         80
        .size:           8
        .value_kind:     global_buffer
    .group_segment_fixed_size: 0
    .kernarg_segment_align: 8
    .kernarg_segment_size: 88
    .language:       OpenCL C
    .language_version:
      - 2
      - 0
    .max_flat_workgroup_size: 112
    .name:           fft_rtc_back_len1680_factors_2_2_2_2_3_7_5_wgs_112_tpt_112_halfLds_sp_ip_CI_unitstride_sbrr_C2R_dirReg
    .private_segment_fixed_size: 0
    .sgpr_count:     26
    .sgpr_spill_count: 0
    .symbol:         fft_rtc_back_len1680_factors_2_2_2_2_3_7_5_wgs_112_tpt_112_halfLds_sp_ip_CI_unitstride_sbrr_C2R_dirReg.kd
    .uniform_work_group_size: 1
    .uses_dynamic_stack: false
    .vgpr_count:     71
    .vgpr_spill_count: 0
    .wavefront_size: 64
amdhsa.target:   amdgcn-amd-amdhsa--gfx906
amdhsa.version:
  - 1
  - 2
...

	.end_amdgpu_metadata
